;; amdgpu-corpus repo=ROCm/rocFFT kind=compiled arch=gfx950 opt=O3
	.text
	.amdgcn_target "amdgcn-amd-amdhsa--gfx950"
	.amdhsa_code_object_version 6
	.protected	fft_rtc_back_len3125_factors_5_5_5_5_5_wgs_125_tpt_125_halfLds_dp_ip_CI_unitstride_sbrr_dirReg ; -- Begin function fft_rtc_back_len3125_factors_5_5_5_5_5_wgs_125_tpt_125_halfLds_dp_ip_CI_unitstride_sbrr_dirReg
	.globl	fft_rtc_back_len3125_factors_5_5_5_5_5_wgs_125_tpt_125_halfLds_dp_ip_CI_unitstride_sbrr_dirReg
	.p2align	8
	.type	fft_rtc_back_len3125_factors_5_5_5_5_5_wgs_125_tpt_125_halfLds_dp_ip_CI_unitstride_sbrr_dirReg,@function
fft_rtc_back_len3125_factors_5_5_5_5_5_wgs_125_tpt_125_halfLds_dp_ip_CI_unitstride_sbrr_dirReg: ; @fft_rtc_back_len3125_factors_5_5_5_5_5_wgs_125_tpt_125_halfLds_dp_ip_CI_unitstride_sbrr_dirReg
; %bb.0:
	s_load_dwordx2 s[8:9], s[0:1], 0x50
	s_load_dwordx4 s[4:7], s[0:1], 0x0
	s_load_dwordx2 s[10:11], s[0:1], 0x18
	v_mul_u32_u24_e32 v1, 0x20d, v0
	v_add_u32_sdwa v6, s2, v1 dst_sel:DWORD dst_unused:UNUSED_PAD src0_sel:DWORD src1_sel:WORD_1
	v_mov_b32_e32 v4, 0
	s_waitcnt lgkmcnt(0)
	v_cmp_lt_u64_e64 s[2:3], s[6:7], 2
	v_mov_b32_e32 v7, v4
	s_and_b64 vcc, exec, s[2:3]
	v_mov_b64_e32 v[2:3], 0
	s_cbranch_vccnz .LBB0_8
; %bb.1:
	s_load_dwordx2 s[2:3], s[0:1], 0x10
	s_add_u32 s12, s10, 8
	s_addc_u32 s13, s11, 0
	s_mov_b64 s[14:15], 1
	v_mov_b64_e32 v[2:3], 0
	s_waitcnt lgkmcnt(0)
	s_add_u32 s16, s2, 8
	s_addc_u32 s17, s3, 0
.LBB0_2:                                ; =>This Inner Loop Header: Depth=1
	s_load_dwordx2 s[18:19], s[16:17], 0x0
                                        ; implicit-def: $vgpr8_vgpr9
	s_waitcnt lgkmcnt(0)
	v_or_b32_e32 v5, s19, v7
	v_cmp_ne_u64_e32 vcc, 0, v[4:5]
	s_and_saveexec_b64 s[2:3], vcc
	s_xor_b64 s[20:21], exec, s[2:3]
	s_cbranch_execz .LBB0_4
; %bb.3:                                ;   in Loop: Header=BB0_2 Depth=1
	v_cvt_f32_u32_e32 v1, s18
	v_cvt_f32_u32_e32 v5, s19
	s_sub_u32 s2, 0, s18
	s_subb_u32 s3, 0, s19
	v_fmac_f32_e32 v1, 0x4f800000, v5
	v_rcp_f32_e32 v1, v1
	s_nop 0
	v_mul_f32_e32 v1, 0x5f7ffffc, v1
	v_mul_f32_e32 v5, 0x2f800000, v1
	v_trunc_f32_e32 v5, v5
	v_fmac_f32_e32 v1, 0xcf800000, v5
	v_cvt_u32_f32_e32 v5, v5
	v_cvt_u32_f32_e32 v1, v1
	v_mul_lo_u32 v8, s2, v5
	v_mul_hi_u32 v10, s2, v1
	v_mul_lo_u32 v9, s3, v1
	v_add_u32_e32 v10, v10, v8
	v_mul_lo_u32 v12, s2, v1
	v_add_u32_e32 v13, v10, v9
	v_mul_hi_u32 v8, v1, v12
	v_mul_hi_u32 v11, v1, v13
	v_mul_lo_u32 v10, v1, v13
	v_mov_b32_e32 v9, v4
	v_lshl_add_u64 v[8:9], v[8:9], 0, v[10:11]
	v_mul_hi_u32 v11, v5, v12
	v_mul_lo_u32 v12, v5, v12
	v_add_co_u32_e32 v8, vcc, v8, v12
	v_mul_hi_u32 v10, v5, v13
	s_nop 0
	v_addc_co_u32_e32 v8, vcc, v9, v11, vcc
	v_mov_b32_e32 v9, v4
	s_nop 0
	v_addc_co_u32_e32 v11, vcc, 0, v10, vcc
	v_mul_lo_u32 v10, v5, v13
	v_lshl_add_u64 v[8:9], v[8:9], 0, v[10:11]
	v_add_co_u32_e32 v1, vcc, v1, v8
	v_mul_lo_u32 v10, s2, v1
	s_nop 0
	v_addc_co_u32_e32 v5, vcc, v5, v9, vcc
	v_mul_lo_u32 v8, s2, v5
	v_mul_hi_u32 v9, s2, v1
	v_add_u32_e32 v8, v9, v8
	v_mul_lo_u32 v9, s3, v1
	v_add_u32_e32 v12, v8, v9
	v_mul_hi_u32 v14, v5, v10
	v_mul_lo_u32 v15, v5, v10
	v_mul_hi_u32 v9, v1, v12
	v_mul_lo_u32 v8, v1, v12
	v_mul_hi_u32 v10, v1, v10
	v_mov_b32_e32 v11, v4
	v_lshl_add_u64 v[8:9], v[10:11], 0, v[8:9]
	v_add_co_u32_e32 v8, vcc, v8, v15
	v_mul_hi_u32 v13, v5, v12
	s_nop 0
	v_addc_co_u32_e32 v8, vcc, v9, v14, vcc
	v_mul_lo_u32 v10, v5, v12
	s_nop 0
	v_addc_co_u32_e32 v11, vcc, 0, v13, vcc
	v_mov_b32_e32 v9, v4
	v_lshl_add_u64 v[8:9], v[8:9], 0, v[10:11]
	v_add_co_u32_e32 v1, vcc, v1, v8
	v_mul_hi_u32 v10, v6, v1
	s_nop 0
	v_addc_co_u32_e32 v5, vcc, v5, v9, vcc
	v_mad_u64_u32 v[8:9], s[2:3], v6, v5, 0
	v_mov_b32_e32 v11, v4
	v_lshl_add_u64 v[8:9], v[10:11], 0, v[8:9]
	v_mad_u64_u32 v[12:13], s[2:3], v7, v1, 0
	v_add_co_u32_e32 v1, vcc, v8, v12
	v_mad_u64_u32 v[10:11], s[2:3], v7, v5, 0
	s_nop 0
	v_addc_co_u32_e32 v8, vcc, v9, v13, vcc
	v_mov_b32_e32 v9, v4
	s_nop 0
	v_addc_co_u32_e32 v11, vcc, 0, v11, vcc
	v_lshl_add_u64 v[8:9], v[8:9], 0, v[10:11]
	v_mul_lo_u32 v1, s19, v8
	v_mul_lo_u32 v5, s18, v9
	v_mad_u64_u32 v[10:11], s[2:3], s18, v8, 0
	v_add3_u32 v1, v11, v5, v1
	v_sub_u32_e32 v5, v7, v1
	v_mov_b32_e32 v11, s19
	v_sub_co_u32_e32 v14, vcc, v6, v10
	v_lshl_add_u64 v[12:13], v[8:9], 0, 1
	s_nop 0
	v_subb_co_u32_e64 v5, s[2:3], v5, v11, vcc
	v_subrev_co_u32_e64 v10, s[2:3], s18, v14
	v_subb_co_u32_e32 v1, vcc, v7, v1, vcc
	s_nop 0
	v_subbrev_co_u32_e64 v5, s[2:3], 0, v5, s[2:3]
	v_cmp_le_u32_e64 s[2:3], s19, v5
	v_cmp_le_u32_e32 vcc, s19, v1
	s_nop 0
	v_cndmask_b32_e64 v11, 0, -1, s[2:3]
	v_cmp_le_u32_e64 s[2:3], s18, v10
	s_nop 1
	v_cndmask_b32_e64 v10, 0, -1, s[2:3]
	v_cmp_eq_u32_e64 s[2:3], s19, v5
	s_nop 1
	v_cndmask_b32_e64 v5, v11, v10, s[2:3]
	v_lshl_add_u64 v[10:11], v[8:9], 0, 2
	v_cmp_ne_u32_e64 s[2:3], 0, v5
	s_nop 1
	v_cndmask_b32_e64 v5, v13, v11, s[2:3]
	v_cndmask_b32_e64 v11, 0, -1, vcc
	v_cmp_le_u32_e32 vcc, s18, v14
	s_nop 1
	v_cndmask_b32_e64 v13, 0, -1, vcc
	v_cmp_eq_u32_e32 vcc, s19, v1
	s_nop 1
	v_cndmask_b32_e32 v1, v11, v13, vcc
	v_cmp_ne_u32_e32 vcc, 0, v1
	v_cndmask_b32_e64 v1, v12, v10, s[2:3]
	s_nop 0
	v_cndmask_b32_e32 v9, v9, v5, vcc
	v_cndmask_b32_e32 v8, v8, v1, vcc
.LBB0_4:                                ;   in Loop: Header=BB0_2 Depth=1
	s_andn2_saveexec_b64 s[2:3], s[20:21]
	s_cbranch_execz .LBB0_6
; %bb.5:                                ;   in Loop: Header=BB0_2 Depth=1
	v_cvt_f32_u32_e32 v1, s18
	s_sub_i32 s20, 0, s18
	v_rcp_iflag_f32_e32 v1, v1
	s_nop 0
	v_mul_f32_e32 v1, 0x4f7ffffe, v1
	v_cvt_u32_f32_e32 v1, v1
	v_mul_lo_u32 v5, s20, v1
	v_mul_hi_u32 v5, v1, v5
	v_add_u32_e32 v1, v1, v5
	v_mul_hi_u32 v1, v6, v1
	v_mul_lo_u32 v5, v1, s18
	v_sub_u32_e32 v5, v6, v5
	v_add_u32_e32 v8, 1, v1
	v_subrev_u32_e32 v9, s18, v5
	v_cmp_le_u32_e32 vcc, s18, v5
	s_nop 1
	v_cndmask_b32_e32 v5, v5, v9, vcc
	v_cndmask_b32_e32 v1, v1, v8, vcc
	v_add_u32_e32 v8, 1, v1
	v_cmp_le_u32_e32 vcc, s18, v5
	v_mov_b32_e32 v9, v4
	s_nop 0
	v_cndmask_b32_e32 v8, v1, v8, vcc
.LBB0_6:                                ;   in Loop: Header=BB0_2 Depth=1
	s_or_b64 exec, exec, s[2:3]
	v_mad_u64_u32 v[10:11], s[2:3], v8, s18, 0
	s_load_dwordx2 s[2:3], s[12:13], 0x0
	v_mul_lo_u32 v1, v9, s18
	v_mul_lo_u32 v5, v8, s19
	v_add3_u32 v1, v11, v5, v1
	v_sub_co_u32_e32 v5, vcc, v6, v10
	s_add_u32 s14, s14, 1
	s_nop 0
	v_subb_co_u32_e32 v1, vcc, v7, v1, vcc
	s_addc_u32 s15, s15, 0
	s_waitcnt lgkmcnt(0)
	v_mul_lo_u32 v1, s2, v1
	v_mul_lo_u32 v6, s3, v5
	v_mad_u64_u32 v[2:3], s[2:3], s2, v5, v[2:3]
	s_add_u32 s12, s12, 8
	v_add3_u32 v3, v6, v3, v1
	s_addc_u32 s13, s13, 0
	v_mov_b64_e32 v[6:7], s[6:7]
	s_add_u32 s16, s16, 8
	v_cmp_ge_u64_e32 vcc, s[14:15], v[6:7]
	s_addc_u32 s17, s17, 0
	s_cbranch_vccnz .LBB0_9
; %bb.7:                                ;   in Loop: Header=BB0_2 Depth=1
	v_mov_b64_e32 v[6:7], v[8:9]
	s_branch .LBB0_2
.LBB0_8:
	v_mov_b64_e32 v[8:9], v[6:7]
.LBB0_9:
	s_lshl_b64 s[2:3], s[6:7], 3
	s_add_u32 s2, s10, s2
	s_addc_u32 s3, s11, s3
	s_load_dwordx2 s[6:7], s[2:3], 0x0
	s_load_dwordx2 s[10:11], s[0:1], 0x20
	s_mov_b32 s2, 0x20c49bb
                                        ; implicit-def: $vgpr32_vgpr33
                                        ; implicit-def: $vgpr56_vgpr57
                                        ; implicit-def: $vgpr48_vgpr49
                                        ; implicit-def: $vgpr64_vgpr65
                                        ; implicit-def: $vgpr40_vgpr41
                                        ; implicit-def: $vgpr60_vgpr61
                                        ; implicit-def: $vgpr44_vgpr45
                                        ; implicit-def: $vgpr16_vgpr17
                                        ; implicit-def: $vgpr6_vgpr7
                                        ; implicit-def: $vgpr28_vgpr29
                                        ; implicit-def: $vgpr72_vgpr73
                                        ; implicit-def: $vgpr106_vgpr107
                                        ; implicit-def: $vgpr108_vgpr109
                                        ; implicit-def: $vgpr110_vgpr111
                                        ; implicit-def: $vgpr36_vgpr37
                                        ; implicit-def: $vgpr52_vgpr53
                                        ; implicit-def: $vgpr20_vgpr21
                                        ; implicit-def: $vgpr68_vgpr69
                                        ; implicit-def: $vgpr84_vgpr85
                                        ; implicit-def: $vgpr80_vgpr81
                                        ; implicit-def: $vgpr76_vgpr77
                                        ; implicit-def: $vgpr12_vgpr13
                                        ; implicit-def: $vgpr100_vgpr101
                                        ; implicit-def: $vgpr92_vgpr93
                                        ; implicit-def: $vgpr96_vgpr97
                                        ; implicit-def: $vgpr88_vgpr89
                                        ; implicit-def: $vgpr24_vgpr25
	s_waitcnt lgkmcnt(0)
	v_mul_lo_u32 v1, s6, v9
	v_mul_lo_u32 v4, s7, v8
	v_mad_u64_u32 v[2:3], s[0:1], s6, v8, v[2:3]
	v_add3_u32 v3, v4, v3, v1
	v_mul_hi_u32 v1, v0, s2
	v_mul_u32_u24_e32 v1, 0x7d, v1
	v_cmp_gt_u64_e64 s[0:1], s[10:11], v[8:9]
	v_sub_u32_e32 v130, v0, v1
	v_lshl_add_u64 v[128:129], v[2:3], 4, s[8:9]
                                        ; implicit-def: $vgpr2_vgpr3
                                        ; implicit-def: $vgpr8_vgpr9
                                        ; implicit-def: $vgpr4_vgpr5
	s_and_saveexec_b64 s[2:3], s[0:1]
	s_cbranch_execz .LBB0_11
; %bb.10:
	v_mov_b32_e32 v131, 0
	v_lshl_add_u64 v[4:5], v[130:131], 4, v[128:129]
	v_add_co_u32_e32 v54, vcc, 0x2000, v4
	s_movk_i32 s6, 0x5000
	s_nop 0
	v_addc_co_u32_e32 v55, vcc, 0, v5, vcc
	v_add_co_u32_e32 v56, vcc, 0x4000, v4
	global_load_dwordx4 v[22:25], v[4:5], off
	global_load_dwordx4 v[10:13], v[4:5], off offset:2000
	v_addc_co_u32_e32 v57, vcc, 0, v5, vcc
	v_add_co_u32_e32 v102, vcc, 0x7000, v4
	s_waitcnt vmcnt(1)
	v_mov_b64_e32 v[110:111], v[22:23]
	v_addc_co_u32_e32 v103, vcc, 0, v5, vcc
	v_add_co_u32_e32 v104, vcc, 0x9000, v4
	s_waitcnt vmcnt(0)
	v_mov_b64_e32 v[108:109], v[10:11]
	v_addc_co_u32_e32 v105, vcc, 0, v5, vcc
	v_add_co_u32_e32 v106, vcc, s6, v4
	s_mov_b32 s6, 0xa000
	s_nop 0
	v_addc_co_u32_e32 v107, vcc, 0, v5, vcc
	v_add_co_u32_e32 v0, vcc, s6, v4
	s_movk_i32 s6, 0x3000
	s_nop 0
	v_addc_co_u32_e32 v1, vcc, 0, v5, vcc
	v_add_co_u32_e32 v78, vcc, s6, v4
	global_load_dwordx4 v[66:69], v[0:1], off offset:1040
	global_load_dwordx4 v[34:37], v[106:107], off offset:3520
	v_addc_co_u32_e32 v79, vcc, 0, v5, vcc
	global_load_dwordx4 v[50:53], v[78:79], off offset:1712
	global_load_dwordx4 v[26:29], v[0:1], off offset:3040
	s_mov_b32 s6, 0x8000
	v_add_co_u32_e32 v80, vcc, s6, v4
	s_movk_i32 s6, 0x1000
	s_nop 0
	v_addc_co_u32_e32 v81, vcc, 0, v5, vcc
	v_add_co_u32_e32 v82, vcc, s6, v4
	s_movk_i32 s6, 0x6000
	s_nop 0
	v_addc_co_u32_e32 v83, vcc, 0, v5, vcc
	v_add_co_u32_e32 v84, vcc, s6, v4
	s_mov_b32 s6, 0xb000
	s_nop 0
	v_addc_co_u32_e32 v85, vcc, 0, v5, vcc
	v_add_co_u32_e32 v98, vcc, s6, v4
	s_nop 1
	v_addc_co_u32_e32 v99, vcc, 0, v5, vcc
	global_load_dwordx4 v[70:73], v[80:81], off offset:1232
	global_load_dwordx4 v[42:45], v[78:79], off offset:3712
	;; [unrolled: 1-line block ×15, first 2 shown]
                                        ; kill: killed $vgpr84 killed $vgpr85
                                        ; kill: killed $vgpr56 killed $vgpr57
                                        ; kill: killed $vgpr82 killed $vgpr83
                                        ; kill: killed $vgpr54 killed $vgpr55
                                        ; kill: killed $vgpr80 killed $vgpr81
                                        ; kill: killed $vgpr78 killed $vgpr79
                                        ; kill: killed $vgpr4 killed $vgpr5
                                        ; kill: killed $vgpr98 killed $vgpr99
	global_load_dwordx4 v[78:81], v[106:107], off offset:1520
	global_load_dwordx4 v[98:101], v[104:105], off offset:3136
	global_load_dwordx4 v[82:85], v[102:103], off offset:3328
	s_nop 0
	global_load_dwordx4 v[54:57], v[104:105], off offset:1136
	s_waitcnt vmcnt(14)
	v_mov_b64_e32 v[4:5], v[6:7]
	v_mov_b64_e32 v[6:7], v[14:15]
	s_waitcnt vmcnt(9)
	v_mov_b64_e32 v[106:107], v[18:19]
.LBB0_11:
	s_or_b64 exec, exec, s[2:3]
	s_waitcnt vmcnt(8)
	v_add_f64 v[10:11], v[86:87], v[110:111]
	s_waitcnt vmcnt(5)
	v_add_f64 v[10:11], v[94:95], v[10:11]
	s_waitcnt vmcnt(4)
	v_add_f64 v[10:11], v[90:91], v[10:11]
	s_waitcnt vmcnt(2)
	v_add_f64 v[114:115], v[98:99], v[10:11]
	v_add_f64 v[10:11], v[90:91], v[94:95]
	s_mov_b32 s2, 0x134454ff
	v_fma_f64 v[112:113], -0.5, v[10:11], v[110:111]
	v_add_f64 v[10:11], v[88:89], -v[100:101]
	s_mov_b32 s3, 0xbfee6f0e
	s_mov_b32 s6, 0x4755a5e
	;; [unrolled: 1-line block ×4, first 2 shown]
	v_fma_f64 v[116:117], s[2:3], v[10:11], v[112:113]
	v_add_f64 v[14:15], v[96:97], -v[92:93]
	s_mov_b32 s7, 0xbfe2cf23
	v_add_f64 v[18:19], v[86:87], -v[94:95]
	v_add_f64 v[22:23], v[98:99], -v[90:91]
	s_mov_b32 s8, 0x372fe950
	v_fmac_f64_e32 v[112:113], s[10:11], v[10:11]
	s_mov_b32 s13, 0x3fe2cf23
	s_mov_b32 s12, s6
	v_fmac_f64_e32 v[116:117], s[6:7], v[14:15]
	v_add_f64 v[18:19], v[22:23], v[18:19]
	s_mov_b32 s9, 0x3fd3c6ef
	v_fmac_f64_e32 v[112:113], s[12:13], v[14:15]
	v_fmac_f64_e32 v[116:117], s[8:9], v[18:19]
	;; [unrolled: 1-line block ×3, first 2 shown]
	v_add_f64 v[18:19], v[98:99], v[86:87]
	v_fmac_f64_e32 v[110:111], -0.5, v[18:19]
	v_fma_f64 v[120:121], s[10:11], v[14:15], v[110:111]
	v_fmac_f64_e32 v[110:111], s[2:3], v[14:15]
	v_fmac_f64_e32 v[120:121], s[6:7], v[10:11]
	;; [unrolled: 1-line block ×3, first 2 shown]
	v_add_f64 v[10:11], v[88:89], v[24:25]
	v_add_f64 v[10:11], v[96:97], v[10:11]
	;; [unrolled: 1-line block ×3, first 2 shown]
	v_add_f64 v[18:19], v[94:95], -v[86:87]
	v_add_f64 v[22:23], v[90:91], -v[98:99]
	v_add_f64 v[104:105], v[100:101], v[10:11]
	v_add_f64 v[10:11], v[92:93], v[96:97]
	;; [unrolled: 1-line block ×3, first 2 shown]
	v_fma_f64 v[102:103], -0.5, v[10:11], v[24:25]
	v_add_f64 v[10:11], v[86:87], -v[98:99]
	v_fmac_f64_e32 v[120:121], s[8:9], v[18:19]
	v_fmac_f64_e32 v[110:111], s[8:9], v[18:19]
	v_fma_f64 v[98:99], s[10:11], v[10:11], v[102:103]
	v_add_f64 v[14:15], v[94:95], -v[90:91]
	v_add_f64 v[18:19], v[88:89], -v[96:97]
	v_add_f64 v[22:23], v[100:101], -v[92:93]
	v_fmac_f64_e32 v[102:103], s[2:3], v[10:11]
	v_fmac_f64_e32 v[98:99], s[12:13], v[14:15]
	v_add_f64 v[18:19], v[22:23], v[18:19]
	v_fmac_f64_e32 v[102:103], s[6:7], v[14:15]
	v_fmac_f64_e32 v[98:99], s[8:9], v[18:19]
	;; [unrolled: 1-line block ×3, first 2 shown]
	v_add_f64 v[18:19], v[100:101], v[88:89]
	v_fmac_f64_e32 v[24:25], -0.5, v[18:19]
	v_fma_f64 v[90:91], s[2:3], v[14:15], v[24:25]
	v_fmac_f64_e32 v[24:25], s[10:11], v[14:15]
	v_fmac_f64_e32 v[90:91], s[12:13], v[10:11]
	;; [unrolled: 1-line block ×3, first 2 shown]
	v_add_f64 v[10:11], v[74:75], v[108:109]
	v_add_f64 v[10:11], v[78:79], v[10:11]
	s_waitcnt vmcnt(1)
	v_add_f64 v[10:11], v[82:83], v[10:11]
	v_add_f64 v[18:19], v[96:97], -v[88:89]
	v_add_f64 v[22:23], v[92:93], -v[100:101]
	v_add_f64 v[100:101], v[66:67], v[10:11]
	v_add_f64 v[10:11], v[82:83], v[78:79]
	v_add_f64 v[18:19], v[22:23], v[18:19]
	v_fma_f64 v[88:89], -0.5, v[10:11], v[108:109]
	v_add_f64 v[10:11], v[76:77], -v[68:69]
	v_fmac_f64_e32 v[90:91], s[8:9], v[18:19]
	v_fmac_f64_e32 v[24:25], s[8:9], v[18:19]
	v_fma_f64 v[118:119], s[2:3], v[10:11], v[88:89]
	v_add_f64 v[14:15], v[80:81], -v[84:85]
	v_add_f64 v[18:19], v[74:75], -v[78:79]
	v_add_f64 v[22:23], v[66:67], -v[82:83]
	v_fmac_f64_e32 v[88:89], s[10:11], v[10:11]
	v_fmac_f64_e32 v[118:119], s[6:7], v[14:15]
	v_add_f64 v[18:19], v[22:23], v[18:19]
	v_fmac_f64_e32 v[88:89], s[12:13], v[14:15]
	v_fmac_f64_e32 v[118:119], s[8:9], v[18:19]
	v_fmac_f64_e32 v[88:89], s[8:9], v[18:19]
	v_add_f64 v[18:19], v[66:67], v[74:75]
	v_fmac_f64_e32 v[108:109], -0.5, v[18:19]
	v_fma_f64 v[96:97], s[10:11], v[14:15], v[108:109]
	v_fmac_f64_e32 v[108:109], s[2:3], v[14:15]
	v_fmac_f64_e32 v[96:97], s[6:7], v[10:11]
	v_fmac_f64_e32 v[108:109], s[12:13], v[10:11]
	v_add_f64 v[10:11], v[76:77], v[12:13]
	v_add_f64 v[10:11], v[80:81], v[10:11]
	v_add_f64 v[10:11], v[84:85], v[10:11]
	v_add_f64 v[18:19], v[78:79], -v[74:75]
	v_add_f64 v[22:23], v[82:83], -v[66:67]
	v_add_f64 v[92:93], v[68:69], v[10:11]
	v_add_f64 v[10:11], v[84:85], v[80:81]
	v_add_f64 v[18:19], v[22:23], v[18:19]
	v_fma_f64 v[10:11], -0.5, v[10:11], v[12:13]
	v_add_f64 v[14:15], v[74:75], -v[66:67]
	v_fmac_f64_e32 v[96:97], s[8:9], v[18:19]
	v_fmac_f64_e32 v[108:109], s[8:9], v[18:19]
	v_fma_f64 v[94:95], s[10:11], v[14:15], v[10:11]
	v_add_f64 v[18:19], v[78:79], -v[82:83]
	v_add_f64 v[22:23], v[76:77], -v[80:81]
	v_add_f64 v[66:67], v[68:69], -v[84:85]
	v_fmac_f64_e32 v[10:11], s[2:3], v[14:15]
	v_fmac_f64_e32 v[94:95], s[12:13], v[18:19]
	v_add_f64 v[22:23], v[66:67], v[22:23]
	v_fmac_f64_e32 v[10:11], s[6:7], v[18:19]
	v_fmac_f64_e32 v[94:95], s[8:9], v[22:23]
	v_fmac_f64_e32 v[10:11], s[8:9], v[22:23]
	v_add_f64 v[22:23], v[68:69], v[76:77]
	v_fmac_f64_e32 v[12:13], -0.5, v[22:23]
	v_fma_f64 v[86:87], s[2:3], v[18:19], v[12:13]
	v_fmac_f64_e32 v[12:13], s[10:11], v[18:19]
	v_fmac_f64_e32 v[86:87], s[12:13], v[14:15]
	v_fmac_f64_e32 v[12:13], s[6:7], v[14:15]
	v_add_f64 v[14:15], v[50:51], v[106:107]
	v_add_f64 v[14:15], v[34:35], v[14:15]
	;; [unrolled: 28-line block ×4, first 2 shown]
	v_add_f64 v[36:37], v[36:37], -v[52:53]
	v_add_f64 v[28:29], v[72:73], -v[28:29]
	v_add_f64 v[26:27], v[38:39], v[26:27]
	v_add_f64 v[28:29], v[28:29], v[36:37]
	;; [unrolled: 1-line block ×4, first 2 shown]
	v_fmac_f64_e32 v[66:67], s[8:9], v[28:29]
	v_fmac_f64_e32 v[20:21], s[8:9], v[28:29]
	v_fma_f64 v[28:29], -0.5, v[26:27], v[6:7]
	v_add_f64 v[26:27], v[44:45], -v[64:65]
	v_fma_f64 v[52:53], s[2:3], v[26:27], v[28:29]
	v_add_f64 v[34:35], v[60:61], -v[40:41]
	v_add_f64 v[36:37], v[42:43], -v[58:59]
	;; [unrolled: 1-line block ×3, first 2 shown]
	v_fmac_f64_e32 v[28:29], s[10:11], v[26:27]
	v_fmac_f64_e32 v[52:53], s[6:7], v[34:35]
	v_add_f64 v[36:37], v[68:69], v[36:37]
	v_fmac_f64_e32 v[28:29], s[12:13], v[34:35]
	v_fmac_f64_e32 v[52:53], s[8:9], v[36:37]
	;; [unrolled: 1-line block ×3, first 2 shown]
	v_add_f64 v[36:37], v[62:63], v[42:43]
	v_fmac_f64_e32 v[6:7], -0.5, v[36:37]
	v_fma_f64 v[36:37], s[10:11], v[34:35], v[6:7]
	v_fmac_f64_e32 v[6:7], s[2:3], v[34:35]
	v_fmac_f64_e32 v[36:37], s[6:7], v[26:27]
	;; [unrolled: 1-line block ×3, first 2 shown]
	v_add_f64 v[26:27], v[44:45], v[16:17]
	v_add_f64 v[26:27], v[60:61], v[26:27]
	v_add_f64 v[68:69], v[58:59], -v[42:43]
	v_add_f64 v[70:71], v[38:39], -v[62:63]
	v_add_f64 v[26:27], v[40:41], v[26:27]
	v_add_f64 v[68:69], v[70:71], v[68:69]
	v_add_f64 v[70:71], v[64:65], v[26:27]
	v_add_f64 v[26:27], v[40:41], v[60:61]
	v_fmac_f64_e32 v[36:37], s[8:9], v[68:69]
	v_fmac_f64_e32 v[6:7], s[8:9], v[68:69]
	v_fma_f64 v[68:69], -0.5, v[26:27], v[16:17]
	v_add_f64 v[26:27], v[42:43], -v[62:63]
	v_fma_f64 v[62:63], s[10:11], v[26:27], v[68:69]
	v_add_f64 v[34:35], v[58:59], -v[38:39]
	v_add_f64 v[38:39], v[44:45], -v[60:61]
	;; [unrolled: 1-line block ×3, first 2 shown]
	v_fmac_f64_e32 v[68:69], s[2:3], v[26:27]
	v_fmac_f64_e32 v[62:63], s[12:13], v[34:35]
	v_add_f64 v[38:39], v[42:43], v[38:39]
	v_fmac_f64_e32 v[68:69], s[6:7], v[34:35]
	v_fmac_f64_e32 v[62:63], s[8:9], v[38:39]
	;; [unrolled: 1-line block ×3, first 2 shown]
	v_add_f64 v[38:39], v[64:65], v[44:45]
	v_fmac_f64_e32 v[16:17], -0.5, v[38:39]
	v_fma_f64 v[58:59], s[2:3], v[34:35], v[16:17]
	v_fmac_f64_e32 v[16:17], s[10:11], v[34:35]
	v_fmac_f64_e32 v[58:59], s[12:13], v[26:27]
	;; [unrolled: 1-line block ×3, first 2 shown]
	v_add_f64 v[26:27], v[46:47], v[4:5]
	v_add_f64 v[38:39], v[60:61], -v[44:45]
	v_add_f64 v[40:41], v[40:41], -v[64:65]
	v_add_f64 v[26:27], v[0:1], v[26:27]
	v_add_f64 v[38:39], v[40:41], v[38:39]
	s_waitcnt vmcnt(0)
	v_add_f64 v[26:27], v[54:55], v[26:27]
	v_fmac_f64_e32 v[58:59], s[8:9], v[38:39]
	v_fmac_f64_e32 v[16:17], s[8:9], v[38:39]
	v_add_f64 v[38:39], v[30:31], v[26:27]
	v_add_f64 v[26:27], v[54:55], v[0:1]
	v_fma_f64 v[26:27], -0.5, v[26:27], v[4:5]
	v_add_f64 v[42:43], v[48:49], -v[32:33]
	v_fma_f64 v[40:41], s[2:3], v[42:43], v[26:27]
	v_add_f64 v[44:45], v[2:3], -v[56:57]
	v_add_f64 v[34:35], v[46:47], -v[0:1]
	;; [unrolled: 1-line block ×3, first 2 shown]
	v_fmac_f64_e32 v[26:27], s[10:11], v[42:43]
	v_fmac_f64_e32 v[40:41], s[6:7], v[44:45]
	v_add_f64 v[34:35], v[60:61], v[34:35]
	v_fmac_f64_e32 v[26:27], s[12:13], v[44:45]
	v_fmac_f64_e32 v[40:41], s[8:9], v[34:35]
	;; [unrolled: 1-line block ×3, first 2 shown]
	v_add_f64 v[34:35], v[30:31], v[46:47]
	v_fmac_f64_e32 v[4:5], -0.5, v[34:35]
	v_fma_f64 v[34:35], s[10:11], v[44:45], v[4:5]
	v_fmac_f64_e32 v[4:5], s[2:3], v[44:45]
	v_fmac_f64_e32 v[34:35], s[6:7], v[42:43]
	;; [unrolled: 1-line block ×3, first 2 shown]
	v_add_f64 v[42:43], v[48:49], v[8:9]
	v_add_f64 v[42:43], v[2:3], v[42:43]
	v_add_f64 v[60:61], v[0:1], -v[46:47]
	v_add_f64 v[64:65], v[54:55], -v[30:31]
	v_add_f64 v[42:43], v[56:57], v[42:43]
	v_add_f64 v[60:61], v[64:65], v[60:61]
	;; [unrolled: 1-line block ×4, first 2 shown]
	v_fmac_f64_e32 v[34:35], s[8:9], v[60:61]
	v_fmac_f64_e32 v[4:5], s[8:9], v[60:61]
	v_fma_f64 v[60:61], -0.5, v[42:43], v[8:9]
	v_add_f64 v[30:31], v[46:47], -v[30:31]
	v_fma_f64 v[72:73], s[10:11], v[30:31], v[60:61]
	v_add_f64 v[0:1], v[0:1], -v[54:55]
	v_add_f64 v[42:43], v[48:49], -v[2:3]
	;; [unrolled: 1-line block ×3, first 2 shown]
	v_fmac_f64_e32 v[60:61], s[2:3], v[30:31]
	v_fmac_f64_e32 v[72:73], s[12:13], v[0:1]
	v_add_f64 v[42:43], v[44:45], v[42:43]
	v_fmac_f64_e32 v[60:61], s[6:7], v[0:1]
	v_fmac_f64_e32 v[72:73], s[8:9], v[42:43]
	v_fmac_f64_e32 v[60:61], s[8:9], v[42:43]
	v_add_f64 v[42:43], v[32:33], v[48:49]
	v_fmac_f64_e32 v[8:9], -0.5, v[42:43]
	v_add_f64 v[32:33], v[56:57], -v[32:33]
	v_mad_u32_u24 v56, v130, 40, 0
	v_fma_f64 v[54:55], s[2:3], v[0:1], v[8:9]
	v_add_f64 v[2:3], v[2:3], -v[48:49]
	v_fmac_f64_e32 v[8:9], s[10:11], v[0:1]
	v_add_u32_e32 v57, 0x1388, v56
	v_add_u32_e32 v145, 0x177, v130
	v_lshlrev_b32_e32 v0, 5, v130
	v_add_f64 v[2:3], v[32:33], v[2:3]
	v_fmac_f64_e32 v[8:9], s[6:7], v[30:31]
	ds_write2_b64 v56, v[114:115], v[116:117] offset1:1
	ds_write2_b64 v56, v[120:121], v[110:111] offset0:2 offset1:3
	ds_write_b64 v56, v[112:113] offset:32
	ds_write2_b64 v57, v[100:101], v[118:119] offset1:1
	v_add_u32_e32 v100, 0x1398, v56
	v_add_u32_e32 v126, 0xfa, v130
	v_mad_u32_u24 v127, v145, 40, 0
	v_sub_u32_e32 v131, v56, v0
	v_lshlrev_b32_e32 v153, 5, v145
	v_fmac_f64_e32 v[54:55], s[12:13], v[30:31]
	v_fmac_f64_e32 v[8:9], s[8:9], v[2:3]
	ds_write2_b64 v100, v[96:97], v[108:109] offset1:1
	ds_write_b64 v56, v[88:89] offset:5032
	v_mad_u32_u24 v139, v126, 40, 0
	v_add_u32_e32 v96, 0x4e20, v56
	v_add_u32_e32 v97, 0x4e30, v56
	;; [unrolled: 1-line block ×8, first 2 shown]
	v_lshlrev_b32_e32 v152, 5, v126
	v_add_u32_e32 v146, 0x2c00, v131
	v_add_u32_e32 v144, 0x5400, v131
	v_sub_u32_e32 v137, v127, v153
	v_add_u32_e32 v150, 0x1c00, v131
	v_add_u32_e32 v151, 0x4400, v131
	s_movk_i32 s14, 0xcd
	v_fmac_f64_e32 v[54:55], s[8:9], v[2:3]
	ds_write2_b64 v139, v[78:79], v[80:81] offset1:1
	ds_write2_b64 v139, v[76:77], v[106:107] offset0:2 offset1:3
	ds_write_b64 v139, v[74:75] offset:32
	ds_write2_b64 v127, v[50:51], v[52:53] offset1:1
	ds_write2_b64 v127, v[36:37], v[6:7] offset0:2 offset1:3
	ds_write_b64 v127, v[28:29] offset:32
	ds_write2_b64 v96, v[38:39], v[40:41] offset1:1
	ds_write2_b64 v97, v[34:35], v[4:5] offset1:1
	ds_write_b64 v56, v[26:27] offset:20032
	s_waitcnt lgkmcnt(0)
	s_barrier
	ds_read2_b64 v[4:7], v131 offset1:125
	ds_read2_b64 v[0:3], v148 offset0:116 offset1:241
	ds_read2_b64 v[78:81], v140 offset0:98 offset1:223
	;; [unrolled: 1-line block ×6, first 2 shown]
	v_sub_u32_e32 v136, v139, v152
	ds_read2_b64 v[34:37], v146 offset0:92 offset1:217
	ds_read2_b64 v[26:29], v144 offset0:62 offset1:187
	ds_read_b64 v[82:83], v137
	ds_read2_b64 v[38:41], v150 offset0:104 offset1:229
	ds_read2_b64 v[30:33], v151 offset0:74 offset1:199
	ds_read_b64 v[84:85], v136
	ds_read_b64 v[88:89], v131 offset:24000
	s_waitcnt lgkmcnt(0)
	s_barrier
	ds_write2_b64 v56, v[104:105], v[98:99] offset1:1
	ds_write2_b64 v56, v[90:91], v[24:25] offset0:2 offset1:3
	ds_write_b64 v56, v[102:103] offset:32
	ds_write2_b64 v57, v[92:93], v[94:95] offset1:1
	ds_write2_b64 v100, v[86:87], v[12:13] offset1:1
	ds_write_b64 v56, v[10:11] offset:5032
	ds_write2_b64 v139, v[18:19], v[22:23] offset1:1
	ds_write2_b64 v139, v[66:67], v[20:21] offset0:2 offset1:3
	ds_write_b64 v139, v[14:15] offset:32
	ds_write2_b64 v127, v[70:71], v[62:63] offset1:1
	ds_write2_b64 v127, v[58:59], v[16:17] offset0:2 offset1:3
	ds_write_b64 v127, v[68:69] offset:32
	ds_write2_b64 v96, v[64:65], v[72:73] offset1:1
	ds_write2_b64 v97, v[54:55], v[8:9] offset1:1
	ds_write_b64 v56, v[60:61] offset:20032
	v_mul_lo_u16_sdwa v8, v130, s14 dst_sel:DWORD dst_unused:UNUSED_PAD src0_sel:BYTE_0 src1_sel:DWORD
	v_lshrrev_b16_e32 v117, 10, v8
	v_mul_lo_u16_e32 v8, 5, v117
	v_sub_u16_e32 v118, v130, v8
	v_mov_b32_e32 v114, 6
	v_lshlrev_b32_sdwa v8, v114, v118 dst_sel:DWORD dst_unused:UNUSED_PAD src0_sel:DWORD src1_sel:BYTE_0
	v_add_u32_e32 v147, 0x7d, v130
	s_waitcnt lgkmcnt(0)
	s_barrier
	global_load_dwordx4 v[90:93], v8, s[4:5]
	global_load_dwordx4 v[94:97], v8, s[4:5] offset:16
	global_load_dwordx4 v[98:101], v8, s[4:5] offset:32
	;; [unrolled: 1-line block ×3, first 2 shown]
	v_mul_lo_u16_sdwa v8, v147, s14 dst_sel:DWORD dst_unused:UNUSED_PAD src0_sel:BYTE_0 src1_sel:DWORD
	v_lshrrev_b16_e32 v119, 10, v8
	v_mul_lo_u16_e32 v8, 5, v119
	v_sub_u16_e32 v120, v147, v8
	v_lshlrev_b32_sdwa v8, v114, v120 dst_sel:DWORD dst_unused:UNUSED_PAD src0_sel:DWORD src1_sel:BYTE_0
	global_load_dwordx4 v[122:125], v8, s[4:5]
	global_load_dwordx4 v[132:135], v8, s[4:5] offset:16
	global_load_dwordx4 v[154:157], v8, s[4:5] offset:32
	;; [unrolled: 1-line block ×3, first 2 shown]
	v_add_u32_e32 v141, 0x1f4, v130
	s_mov_b32 s14, 0xcccd
	v_mul_u32_u24_sdwa v8, v141, s14 dst_sel:DWORD dst_unused:UNUSED_PAD src0_sel:WORD_0 src1_sel:DWORD
	v_lshrrev_b32_e32 v115, 18, v8
	v_mul_lo_u16_e32 v8, 5, v115
	v_sub_u16_e32 v116, v141, v8
	v_lshlrev_b32_e32 v8, 6, v116
	global_load_dwordx4 v[70:73], v8, s[4:5]
	global_load_dwordx4 v[66:69], v8, s[4:5] offset:16
	global_load_dwordx4 v[62:65], v8, s[4:5] offset:32
	;; [unrolled: 1-line block ×3, first 2 shown]
	ds_read2_b64 v[8:11], v148 offset0:116 offset1:241
	ds_read2_b64 v[162:165], v140 offset0:98 offset1:223
	;; [unrolled: 1-line block ×6, first 2 shown]
	ds_read_b64 v[86:87], v137
	ds_read2_b64 v[18:21], v150 offset0:104 offset1:229
	s_mov_b32 s15, 0x5040100
	s_waitcnt vmcnt(11) lgkmcnt(7)
	v_mul_f64 v[102:103], v[10:11], v[92:93]
	v_fmac_f64_e32 v[102:103], v[2:3], v[90:91]
	v_mul_f64 v[2:3], v[2:3], v[92:93]
	v_fma_f64 v[92:93], v[10:11], v[90:91], -v[2:3]
	s_waitcnt vmcnt(10) lgkmcnt(6)
	v_mul_f64 v[104:105], v[162:163], v[96:97]
	v_mul_f64 v[2:3], v[78:79], v[96:97]
	v_fmac_f64_e32 v[104:105], v[78:79], v[94:95]
	v_fma_f64 v[94:95], v[162:163], v[94:95], -v[2:3]
	s_waitcnt vmcnt(9)
	v_mul_f64 v[2:3], v[52:53], v[100:101]
	s_waitcnt lgkmcnt(5)
	v_mul_f64 v[106:107], v[14:15], v[100:101]
	v_fma_f64 v[96:97], v[14:15], v[98:99], -v[2:3]
	s_waitcnt vmcnt(8) lgkmcnt(4)
	v_mul_f64 v[108:109], v[166:167], v[112:113]
	v_mul_f64 v[2:3], v[74:75], v[112:113]
	v_fmac_f64_e32 v[106:107], v[52:53], v[98:99]
	v_fmac_f64_e32 v[108:109], v[74:75], v[110:111]
	v_fma_f64 v[98:99], v[166:167], v[110:111], -v[2:3]
	s_waitcnt vmcnt(7) lgkmcnt(3)
	v_mul_f64 v[74:75], v[54:55], v[124:125]
	v_mul_f64 v[2:3], v[46:47], v[124:125]
	v_mul_u32_u24_sdwa v52, v126, s14 dst_sel:DWORD dst_unused:UNUSED_PAD src0_sel:WORD_0 src1_sel:DWORD
	v_fmac_f64_e32 v[74:75], v[46:47], v[122:123]
	v_fma_f64 v[2:3], v[54:55], v[122:123], -v[2:3]
	v_lshrrev_b32_e32 v122, 18, v52
	v_mul_lo_u16_e32 v52, 5, v122
	v_sub_u16_e32 v121, v126, v52
	s_waitcnt vmcnt(6)
	v_mul_f64 v[90:91], v[164:165], v[134:135]
	v_mul_f64 v[46:47], v[80:81], v[134:135]
	v_lshlrev_b32_e32 v123, 6, v121
	v_fmac_f64_e32 v[90:91], v[80:81], v[132:133]
	v_fma_f64 v[46:47], v[164:165], v[132:133], -v[46:47]
	global_load_dwordx4 v[132:135], v123, s[4:5]
	s_waitcnt vmcnt(6) lgkmcnt(2)
	v_mul_f64 v[80:81], v[22:23], v[156:157]
	v_fmac_f64_e32 v[80:81], v[42:43], v[154:155]
	v_mul_f64 v[42:43], v[42:43], v[156:157]
	v_fma_f64 v[22:23], v[22:23], v[154:155], -v[42:43]
	global_load_dwordx4 v[154:157], v123, s[4:5] offset:32
	ds_read2_b64 v[14:17], v151 offset0:74 offset1:199
	ds_read_b64 v[10:11], v131 offset:24000
	s_waitcnt vmcnt(5) lgkmcnt(2)
	v_mul_f64 v[112:113], v[20:21], v[72:73]
	v_fmac_f64_e32 v[112:113], v[40:41], v[70:71]
	v_mul_f64 v[40:41], v[40:41], v[72:73]
	v_mul_f64 v[78:79], v[168:169], v[160:161]
	v_fma_f64 v[72:73], v[20:21], v[70:71], -v[40:41]
	s_waitcnt vmcnt(4)
	v_mul_f64 v[20:21], v[50:51], v[68:69]
	v_fmac_f64_e32 v[78:79], v[76:77], v[158:159]
	v_mul_f64 v[42:43], v[76:77], v[160:161]
	v_mul_f64 v[70:71], v[12:13], v[68:69]
	v_fma_f64 v[76:77], v[12:13], v[66:67], -v[20:21]
	s_waitcnt vmcnt(3)
	v_mul_f64 v[12:13], v[32:33], v[64:65]
	v_fmac_f64_e32 v[70:71], v[50:51], v[66:67]
	s_waitcnt lgkmcnt(1)
	v_mul_f64 v[66:67], v[16:17], v[64:65]
	v_fma_f64 v[110:111], v[16:17], v[62:63], -v[12:13]
	s_waitcnt vmcnt(2) lgkmcnt(0)
	v_mul_f64 v[64:65], v[10:11], v[60:61]
	v_mul_f64 v[12:13], v[88:89], v[60:61]
	v_fmac_f64_e32 v[64:65], v[88:89], v[58:59]
	v_fma_f64 v[88:89], v[10:11], v[58:59], -v[12:13]
	v_add_f64 v[10:11], v[104:105], v[106:107]
	v_fma_f64 v[16:17], -0.5, v[10:11], v[4:5]
	v_add_f64 v[40:41], v[92:93], -v[98:99]
	v_fma_f64 v[50:51], s[2:3], v[40:41], v[16:17]
	v_add_f64 v[10:11], v[94:95], -v[96:97]
	v_add_f64 v[12:13], v[102:103], -v[104:105]
	;; [unrolled: 1-line block ×3, first 2 shown]
	v_fmac_f64_e32 v[16:17], s[10:11], v[40:41]
	v_fmac_f64_e32 v[50:51], s[6:7], v[10:11]
	v_add_f64 v[12:13], v[12:13], v[20:21]
	v_fmac_f64_e32 v[16:17], s[12:13], v[10:11]
	v_fmac_f64_e32 v[50:51], s[8:9], v[12:13]
	;; [unrolled: 1-line block ×3, first 2 shown]
	v_add_f64 v[12:13], v[102:103], v[108:109]
	v_fma_f64 v[20:21], -0.5, v[12:13], v[4:5]
	v_add_f64 v[12:13], v[104:105], -v[102:103]
	v_add_f64 v[52:53], v[106:107], -v[108:109]
	v_fmac_f64_e32 v[66:67], v[32:33], v[62:63]
	v_fma_f64 v[32:33], s[10:11], v[10:11], v[20:21]
	v_add_f64 v[52:53], v[12:13], v[52:53]
	v_fmac_f64_e32 v[20:21], s[2:3], v[10:11]
	ds_read2_b64 v[10:13], v131 offset1:125
	v_add_f64 v[4:5], v[4:5], v[102:103]
	v_add_f64 v[4:5], v[4:5], v[104:105]
	;; [unrolled: 1-line block ×3, first 2 shown]
	v_fmac_f64_e32 v[32:33], s[6:7], v[40:41]
	v_fmac_f64_e32 v[20:21], s[12:13], v[40:41]
	v_add_f64 v[100:101], v[4:5], v[108:109]
	v_add_f64 v[4:5], v[94:95], v[96:97]
	v_fmac_f64_e32 v[32:33], s[8:9], v[52:53]
	v_fmac_f64_e32 v[20:21], s[8:9], v[52:53]
	s_waitcnt lgkmcnt(0)
	v_fma_f64 v[52:53], -0.5, v[4:5], v[10:11]
	v_add_f64 v[4:5], v[102:103], -v[108:109]
	v_add_f64 v[40:41], v[104:105], -v[106:107]
	global_load_dwordx4 v[106:109], v123, s[4:5] offset:16
	v_add_f64 v[54:55], v[92:93], -v[94:95]
	v_add_f64 v[58:59], v[98:99], -v[96:97]
	v_fma_f64 v[60:61], s[10:11], v[4:5], v[52:53]
	v_fmac_f64_e32 v[52:53], s[2:3], v[4:5]
	v_add_f64 v[54:55], v[54:55], v[58:59]
	v_fmac_f64_e32 v[60:61], s[12:13], v[40:41]
	v_fmac_f64_e32 v[52:53], s[6:7], v[40:41]
	;; [unrolled: 1-line block ×4, first 2 shown]
	v_add_f64 v[54:55], v[10:11], v[92:93]
	v_add_f64 v[54:55], v[54:55], v[94:95]
	;; [unrolled: 1-line block ×5, first 2 shown]
	v_fma_f64 v[54:55], -0.5, v[54:55], v[10:11]
	v_add_f64 v[68:69], v[94:95], -v[92:93]
	v_add_f64 v[10:11], v[96:97], -v[98:99]
	v_fma_f64 v[58:59], s[2:3], v[40:41], v[54:55]
	v_fmac_f64_e32 v[54:55], s[10:11], v[40:41]
	v_add_f64 v[10:11], v[68:69], v[10:11]
	v_fmac_f64_e32 v[58:59], s[12:13], v[4:5]
	v_fmac_f64_e32 v[54:55], s[6:7], v[4:5]
	v_fma_f64 v[42:43], v[168:169], v[158:159], -v[42:43]
	v_fmac_f64_e32 v[58:59], s[8:9], v[10:11]
	v_fmac_f64_e32 v[54:55], s[8:9], v[10:11]
	s_waitcnt vmcnt(2)
	v_mul_f64 v[10:11], v[48:49], v[134:135]
	v_add_f64 v[40:41], v[90:91], v[80:81]
	v_mul_f64 v[94:95], v[56:57], v[134:135]
	v_fma_f64 v[40:41], -0.5, v[40:41], v[6:7]
	v_fma_f64 v[92:93], v[56:57], v[132:133], -v[10:11]
	v_add_f64 v[10:11], v[2:3], -v[42:43]
	v_add_f64 v[56:57], v[74:75], -v[90:91]
	v_add_f64 v[68:69], v[78:79], -v[80:81]
	v_fmac_f64_e32 v[94:95], v[48:49], v[132:133]
	v_fma_f64 v[48:49], s[2:3], v[10:11], v[40:41]
	v_add_f64 v[56:57], v[56:57], v[68:69]
	v_add_f64 v[68:69], v[46:47], -v[22:23]
	v_fmac_f64_e32 v[40:41], s[10:11], v[10:11]
	v_fmac_f64_e32 v[48:49], s[6:7], v[68:69]
	;; [unrolled: 1-line block ×5, first 2 shown]
	v_add_f64 v[56:57], v[74:75], v[78:79]
	v_add_f64 v[4:5], v[6:7], v[74:75]
	v_fmac_f64_e32 v[6:7], -0.5, v[56:57]
	s_waitcnt vmcnt(1)
	v_mul_f64 v[56:57], v[44:45], v[156:157]
	v_mul_f64 v[98:99], v[24:25], v[156:157]
	v_fma_f64 v[96:97], v[24:25], v[154:155], -v[56:57]
	v_add_f64 v[24:25], v[90:91], -v[74:75]
	v_add_f64 v[56:57], v[80:81], -v[78:79]
	v_add_f64 v[24:25], v[24:25], v[56:57]
	v_mul_u32_u24_sdwa v56, v145, s14 dst_sel:DWORD dst_unused:UNUSED_PAD src0_sel:WORD_0 src1_sel:DWORD
	v_lshrrev_b32_e32 v105, 18, v56
	v_mul_lo_u16_e32 v56, 5, v105
	v_sub_u16_e32 v104, v145, v56
	v_lshlrev_b32_e32 v102, 6, v104
	global_load_dwordx4 v[132:135], v102, s[4:5]
	v_fmac_f64_e32 v[98:99], v[44:45], v[154:155]
	global_load_dwordx4 v[154:157], v102, s[4:5] offset:16
	v_fma_f64 v[44:45], s[10:11], v[68:69], v[6:7]
	v_fmac_f64_e32 v[6:7], s[2:3], v[68:69]
	v_add_f64 v[4:5], v[4:5], v[90:91]
	v_fmac_f64_e32 v[44:45], s[6:7], v[10:11]
	v_fmac_f64_e32 v[6:7], s[12:13], v[10:11]
	v_add_f64 v[10:11], v[46:47], v[22:23]
	v_add_f64 v[4:5], v[4:5], v[80:81]
	v_fmac_f64_e32 v[44:45], s[8:9], v[24:25]
	v_fmac_f64_e32 v[6:7], s[8:9], v[24:25]
	v_add_f64 v[24:25], v[12:13], v[2:3]
	v_fma_f64 v[10:11], -0.5, v[10:11], v[12:13]
	v_add_f64 v[56:57], v[74:75], -v[78:79]
	v_add_f64 v[4:5], v[4:5], v[78:79]
	v_fma_f64 v[78:79], s[10:11], v[56:57], v[10:11]
	v_add_f64 v[74:75], v[90:91], -v[80:81]
	v_add_f64 v[68:69], v[2:3], -v[46:47]
	;; [unrolled: 1-line block ×3, first 2 shown]
	v_fmac_f64_e32 v[10:11], s[2:3], v[56:57]
	v_add_f64 v[24:25], v[24:25], v[46:47]
	v_fmac_f64_e32 v[78:79], s[12:13], v[74:75]
	v_add_f64 v[68:69], v[68:69], v[80:81]
	v_fmac_f64_e32 v[10:11], s[6:7], v[74:75]
	v_add_f64 v[24:25], v[24:25], v[22:23]
	v_fmac_f64_e32 v[78:79], s[8:9], v[68:69]
	v_fmac_f64_e32 v[10:11], s[8:9], v[68:69]
	v_add_f64 v[68:69], v[2:3], v[42:43]
	v_add_f64 v[90:91], v[24:25], v[42:43]
	v_add_f64 v[42:43], v[22:23], -v[42:43]
	ds_read2_b64 v[22:25], v146 offset0:92 offset1:217
	v_fmac_f64_e32 v[12:13], -0.5, v[68:69]
	v_add_f64 v[2:3], v[46:47], -v[2:3]
	v_fma_f64 v[68:69], s[2:3], v[74:75], v[12:13]
	v_fmac_f64_e32 v[12:13], s[10:11], v[74:75]
	v_add_f64 v[2:3], v[2:3], v[42:43]
	v_fmac_f64_e32 v[68:69], s[12:13], v[56:57]
	v_fmac_f64_e32 v[12:13], s[6:7], v[56:57]
	;; [unrolled: 1-line block ×4, first 2 shown]
	v_add_f64 v[2:3], v[70:71], v[66:67]
	v_fma_f64 v[2:3], -0.5, v[2:3], v[0:1]
	v_add_f64 v[46:47], v[72:73], -v[88:89]
	v_add_f64 v[56:57], v[112:113], -v[70:71]
	;; [unrolled: 1-line block ×3, first 2 shown]
	v_add_f64 v[56:57], v[56:57], v[74:75]
	v_add_f64 v[42:43], v[0:1], v[112:113]
	s_movk_i32 s14, 0xc8
	s_waitcnt vmcnt(1)
	v_mul_f64 v[80:81], v[18:19], v[134:135]
	v_fmac_f64_e32 v[80:81], v[38:39], v[132:133]
	v_mul_f64 v[38:39], v[38:39], v[134:135]
	s_waitcnt lgkmcnt(0)
	v_mul_f64 v[134:135], v[22:23], v[108:109]
	v_fmac_f64_e32 v[134:135], v[34:35], v[106:107]
	v_mul_f64 v[34:35], v[34:35], v[108:109]
	v_fma_f64 v[158:159], v[22:23], v[106:107], -v[34:35]
	global_load_dwordx4 v[106:109], v102, s[4:5] offset:32
	s_waitcnt vmcnt(1)
	v_mul_f64 v[160:161], v[24:25], v[156:157]
	v_mul_f64 v[22:23], v[36:37], v[156:157]
	v_fmac_f64_e32 v[160:161], v[36:37], v[154:155]
	v_fma_f64 v[162:163], v[24:25], v[154:155], -v[22:23]
	global_load_dwordx4 v[154:157], v102, s[4:5] offset:48
	global_load_dwordx4 v[34:37], v123, s[4:5] offset:48
	v_fma_f64 v[124:125], v[18:19], v[132:133], -v[38:39]
	v_fma_f64 v[18:19], s[2:3], v[46:47], v[2:3]
	v_add_f64 v[38:39], v[76:77], -v[110:111]
	v_fmac_f64_e32 v[2:3], s[10:11], v[46:47]
	v_fmac_f64_e32 v[18:19], s[6:7], v[38:39]
	;; [unrolled: 1-line block ×5, first 2 shown]
	v_add_f64 v[56:57], v[112:113], v[64:65]
	v_fmac_f64_e32 v[0:1], -0.5, v[56:57]
	v_add_f64 v[22:23], v[70:71], -v[112:113]
	v_add_f64 v[24:25], v[66:67], -v[64:65]
	v_add_f64 v[56:57], v[22:23], v[24:25]
	v_fma_f64 v[22:23], s[10:11], v[38:39], v[0:1]
	v_fmac_f64_e32 v[0:1], s[2:3], v[38:39]
	v_add_f64 v[24:25], v[42:43], v[70:71]
	v_add_f64 v[24:25], v[24:25], v[66:67]
	v_fmac_f64_e32 v[22:23], s[6:7], v[46:47]
	v_fmac_f64_e32 v[0:1], s[12:13], v[46:47]
	v_add_f64 v[42:43], v[76:77], v[110:111]
	v_add_f64 v[24:25], v[24:25], v[64:65]
	v_fmac_f64_e32 v[22:23], s[8:9], v[56:57]
	v_fmac_f64_e32 v[0:1], s[8:9], v[56:57]
	v_fma_f64 v[56:57], -0.5, v[42:43], v[8:9]
	v_add_f64 v[42:43], v[112:113], -v[64:65]
	v_add_f64 v[46:47], v[70:71], -v[66:67]
	;; [unrolled: 1-line block ×4, first 2 shown]
	v_add_f64 v[38:39], v[8:9], v[72:73]
	v_add_f64 v[66:67], v[64:65], v[66:67]
	v_fma_f64 v[64:65], s[10:11], v[42:43], v[56:57]
	v_fmac_f64_e32 v[56:57], s[2:3], v[42:43]
	v_fmac_f64_e32 v[64:65], s[12:13], v[46:47]
	;; [unrolled: 1-line block ×3, first 2 shown]
	v_add_f64 v[38:39], v[38:39], v[76:77]
	v_fmac_f64_e32 v[64:65], s[8:9], v[66:67]
	v_fmac_f64_e32 v[56:57], s[8:9], v[66:67]
	v_add_f64 v[66:67], v[72:73], v[88:89]
	v_add_f64 v[38:39], v[38:39], v[110:111]
	v_fmac_f64_e32 v[8:9], -0.5, v[66:67]
	v_add_f64 v[66:67], v[38:39], v[88:89]
	v_add_f64 v[38:39], v[76:77], -v[72:73]
	ds_read2_b64 v[74:77], v144 offset0:62 offset1:187
	v_add_f64 v[72:73], v[110:111], -v[88:89]
	v_add_f64 v[38:39], v[38:39], v[72:73]
	v_fma_f64 v[72:73], s[2:3], v[46:47], v[8:9]
	v_fmac_f64_e32 v[8:9], s[10:11], v[46:47]
	v_fmac_f64_e32 v[72:73], s[12:13], v[42:43]
	;; [unrolled: 1-line block ×3, first 2 shown]
	v_mov_b32_e32 v132, 3
	v_fmac_f64_e32 v[72:73], s[8:9], v[38:39]
	v_fmac_f64_e32 v[8:9], s[8:9], v[38:39]
	v_mul_u32_u24_e32 v38, 0xc8, v117
	v_lshlrev_b32_sdwa v39, v132, v118 dst_sel:DWORD dst_unused:UNUSED_PAD src0_sel:DWORD src1_sel:BYTE_0
	v_add3_u32 v103, 0, v38, v39
	v_mul_u32_u24_e32 v38, 0xc8, v119
	v_lshlrev_b32_sdwa v39, v132, v120 dst_sel:DWORD dst_unused:UNUSED_PAD src0_sel:DWORD src1_sel:BYTE_0
	v_add3_u32 v102, 0, v38, v39
	ds_read_b64 v[70:71], v136
	s_waitcnt lgkmcnt(0)
	s_barrier
	ds_write2_b64 v103, v[100:101], v[50:51] offset1:5
	ds_write2_b64 v103, v[32:33], v[20:21] offset0:10 offset1:15
	ds_write_b64 v103, v[16:17] offset:160
	ds_write2_b64 v102, v[4:5], v[48:49] offset1:5
	ds_write2_b64 v102, v[44:45], v[6:7] offset0:10 offset1:15
	ds_write_b64 v102, v[40:41] offset:160
	v_perm_b32 v4, v105, v122, s15
	v_pk_mul_lo_u16 v4, v4, s14 op_sel_hi:[1,0]
	v_lshlrev_b32_e32 v6, 3, v121
	v_and_b32_e32 v5, 0xfff8, v4
	v_add3_u32 v100, 0, v5, v6
	v_lshrrev_b32_e32 v4, 16, v4
	v_lshlrev_b32_e32 v5, 3, v104
	v_add3_u32 v101, 0, v4, v5
	v_mul_u32_u24_e32 v4, 0xc8, v115
	v_lshlrev_b32_e32 v5, 3, v116
	s_waitcnt vmcnt(2)
	v_mul_f64 v[110:111], v[14:15], v[108:109]
	v_fmac_f64_e32 v[110:111], v[30:31], v[106:107]
	v_mul_f64 v[30:31], v[30:31], v[108:109]
	v_fma_f64 v[106:107], v[14:15], v[106:107], -v[30:31]
	v_add_f64 v[30:31], v[158:159], -v[96:97]
	s_waitcnt vmcnt(1)
	v_mul_f64 v[14:15], v[28:29], v[156:157]
	v_fma_f64 v[112:113], v[76:77], v[154:155], -v[14:15]
	v_add_f64 v[14:15], v[84:85], v[94:95]
	s_waitcnt vmcnt(0)
	v_mul_f64 v[38:39], v[74:75], v[36:37]
	v_add_f64 v[14:15], v[14:15], v[134:135]
	v_fmac_f64_e32 v[38:39], v[26:27], v[34:35]
	v_mul_f64 v[26:27], v[26:27], v[36:37]
	v_add_f64 v[14:15], v[14:15], v[98:99]
	v_fma_f64 v[26:27], v[74:75], v[34:35], -v[26:27]
	v_mul_f64 v[108:109], v[76:77], v[156:157]
	v_add_f64 v[42:43], v[14:15], v[38:39]
	v_add_f64 v[14:15], v[134:135], v[98:99]
	v_fmac_f64_e32 v[108:109], v[28:29], v[154:155]
	v_fma_f64 v[28:29], -0.5, v[14:15], v[84:85]
	v_add_f64 v[14:15], v[92:93], -v[26:27]
	v_fma_f64 v[46:47], s[2:3], v[14:15], v[28:29]
	v_add_f64 v[34:35], v[94:95], -v[134:135]
	v_add_f64 v[36:37], v[38:39], -v[98:99]
	v_fmac_f64_e32 v[28:29], s[10:11], v[14:15]
	v_fmac_f64_e32 v[46:47], s[6:7], v[30:31]
	v_add_f64 v[34:35], v[34:35], v[36:37]
	v_fmac_f64_e32 v[28:29], s[12:13], v[30:31]
	v_fmac_f64_e32 v[46:47], s[8:9], v[34:35]
	;; [unrolled: 1-line block ×3, first 2 shown]
	v_add_f64 v[34:35], v[94:95], v[38:39]
	v_fmac_f64_e32 v[84:85], -0.5, v[34:35]
	v_fma_f64 v[34:35], s[10:11], v[30:31], v[84:85]
	v_add_f64 v[36:37], v[134:135], -v[94:95]
	v_add_f64 v[74:75], v[98:99], -v[38:39]
	v_fmac_f64_e32 v[84:85], s[2:3], v[30:31]
	v_add_f64 v[30:31], v[158:159], v[96:97]
	v_fmac_f64_e32 v[34:35], s[6:7], v[14:15]
	v_add_f64 v[36:37], v[36:37], v[74:75]
	v_fmac_f64_e32 v[84:85], s[12:13], v[14:15]
	v_fma_f64 v[74:75], -0.5, v[30:31], v[70:71]
	v_add_f64 v[30:31], v[94:95], -v[38:39]
	v_fmac_f64_e32 v[34:35], s[8:9], v[36:37]
	v_fmac_f64_e32 v[84:85], s[8:9], v[36:37]
	v_fma_f64 v[76:77], s[10:11], v[30:31], v[74:75]
	v_add_f64 v[36:37], v[134:135], -v[98:99]
	v_add_f64 v[38:39], v[92:93], -v[158:159]
	;; [unrolled: 1-line block ×3, first 2 shown]
	v_fmac_f64_e32 v[74:75], s[2:3], v[30:31]
	v_add_f64 v[14:15], v[70:71], v[92:93]
	v_fmac_f64_e32 v[76:77], s[12:13], v[36:37]
	v_add_f64 v[38:39], v[38:39], v[88:89]
	v_fmac_f64_e32 v[74:75], s[6:7], v[36:37]
	v_add_f64 v[14:15], v[14:15], v[158:159]
	v_fmac_f64_e32 v[76:77], s[8:9], v[38:39]
	v_fmac_f64_e32 v[74:75], s[8:9], v[38:39]
	v_add_f64 v[38:39], v[92:93], v[26:27]
	v_add_f64 v[14:15], v[14:15], v[96:97]
	v_fmac_f64_e32 v[70:71], -0.5, v[38:39]
	v_add_f64 v[14:15], v[14:15], v[26:27]
	v_fma_f64 v[88:89], s[2:3], v[36:37], v[70:71]
	v_add_f64 v[38:39], v[158:159], -v[92:93]
	v_add_f64 v[26:27], v[96:97], -v[26:27]
	v_fmac_f64_e32 v[70:71], s[10:11], v[36:37]
	v_fmac_f64_e32 v[88:89], s[12:13], v[30:31]
	v_add_f64 v[26:27], v[38:39], v[26:27]
	v_fmac_f64_e32 v[70:71], s[6:7], v[30:31]
	v_fmac_f64_e32 v[88:89], s[8:9], v[26:27]
	;; [unrolled: 1-line block ×3, first 2 shown]
	v_add_f64 v[26:27], v[82:83], v[80:81]
	v_add_f64 v[26:27], v[26:27], v[160:161]
	;; [unrolled: 1-line block ×5, first 2 shown]
	v_fma_f64 v[26:27], -0.5, v[26:27], v[82:83]
	v_add_f64 v[92:93], v[124:125], -v[112:113]
	v_fma_f64 v[38:39], s[2:3], v[92:93], v[26:27]
	v_add_f64 v[94:95], v[162:163], -v[106:107]
	v_add_f64 v[30:31], v[80:81], -v[160:161]
	;; [unrolled: 1-line block ×3, first 2 shown]
	v_fmac_f64_e32 v[26:27], s[10:11], v[92:93]
	v_fmac_f64_e32 v[38:39], s[6:7], v[94:95]
	v_add_f64 v[30:31], v[30:31], v[96:97]
	v_fmac_f64_e32 v[26:27], s[12:13], v[94:95]
	v_fmac_f64_e32 v[38:39], s[8:9], v[30:31]
	;; [unrolled: 1-line block ×3, first 2 shown]
	v_add_f64 v[30:31], v[80:81], v[108:109]
	v_fmac_f64_e32 v[82:83], -0.5, v[30:31]
	v_fma_f64 v[30:31], s[10:11], v[94:95], v[82:83]
	v_add_f64 v[96:97], v[160:161], -v[80:81]
	v_add_f64 v[98:99], v[110:111], -v[108:109]
	v_fmac_f64_e32 v[82:83], s[2:3], v[94:95]
	v_add_f64 v[94:95], v[162:163], v[106:107]
	v_fmac_f64_e32 v[30:31], s[6:7], v[92:93]
	v_add_f64 v[96:97], v[96:97], v[98:99]
	v_fmac_f64_e32 v[82:83], s[12:13], v[92:93]
	v_fma_f64 v[94:95], -0.5, v[94:95], v[86:87]
	v_add_f64 v[80:81], v[80:81], -v[108:109]
	v_fmac_f64_e32 v[30:31], s[8:9], v[96:97]
	v_fmac_f64_e32 v[82:83], s[8:9], v[96:97]
	v_fma_f64 v[96:97], s[10:11], v[80:81], v[94:95]
	v_add_f64 v[108:109], v[160:161], -v[110:111]
	v_add_f64 v[98:99], v[124:125], -v[162:163]
	v_add_f64 v[110:111], v[112:113], -v[106:107]
	v_fmac_f64_e32 v[94:95], s[2:3], v[80:81]
	v_fmac_f64_e32 v[96:97], s[12:13], v[108:109]
	v_add_f64 v[98:99], v[98:99], v[110:111]
	v_fmac_f64_e32 v[94:95], s[6:7], v[108:109]
	v_add_f64 v[92:93], v[86:87], v[124:125]
	v_fmac_f64_e32 v[96:97], s[8:9], v[98:99]
	v_fmac_f64_e32 v[94:95], s[8:9], v[98:99]
	v_add_f64 v[98:99], v[124:125], v[112:113]
	v_add_f64 v[92:93], v[92:93], v[162:163]
	v_fmac_f64_e32 v[86:87], -0.5, v[98:99]
	v_add_f64 v[92:93], v[92:93], v[106:107]
	v_fma_f64 v[98:99], s[2:3], v[108:109], v[86:87]
	v_add_f64 v[110:111], v[162:163], -v[124:125]
	v_add_f64 v[106:107], v[106:107], -v[112:113]
	v_fmac_f64_e32 v[86:87], s[10:11], v[108:109]
	v_fmac_f64_e32 v[98:99], s[12:13], v[80:81]
	v_add_f64 v[106:107], v[110:111], v[106:107]
	v_fmac_f64_e32 v[86:87], s[6:7], v[80:81]
	v_add3_u32 v104, 0, v4, v5
	v_add_f64 v[92:93], v[92:93], v[112:113]
	v_fmac_f64_e32 v[98:99], s[8:9], v[106:107]
	v_fmac_f64_e32 v[86:87], s[8:9], v[106:107]
	ds_write2_b64 v100, v[42:43], v[46:47] offset1:5
	ds_write2_b64 v100, v[34:35], v[84:85] offset0:10 offset1:15
	ds_write_b64 v100, v[28:29] offset:160
	ds_write2_b64 v101, v[36:37], v[38:39] offset1:5
	ds_write2_b64 v101, v[30:31], v[82:83] offset0:10 offset1:15
	ds_write_b64 v101, v[26:27] offset:160
	;; [unrolled: 3-line block ×3, first 2 shown]
	s_waitcnt lgkmcnt(0)
	s_barrier
	ds_read2_b64 v[4:7], v131 offset1:125
	ds_read2_b64 v[0:3], v148 offset0:116 offset1:241
	ds_read2_b64 v[48:51], v140 offset0:98 offset1:223
	;; [unrolled: 1-line block ×8, first 2 shown]
	ds_read_b64 v[80:81], v137
	ds_read2_b64 v[24:27], v150 offset0:104 offset1:229
	ds_read2_b64 v[20:23], v151 offset0:74 offset1:199
	ds_read_b64 v[82:83], v136
	ds_read_b64 v[84:85], v131 offset:24000
	s_waitcnt lgkmcnt(0)
	s_barrier
	ds_write2_b64 v103, v[62:63], v[60:61] offset1:5
	ds_write2_b64 v103, v[58:59], v[54:55] offset0:10 offset1:15
	ds_write_b64 v103, v[52:53] offset:160
	ds_write2_b64 v102, v[90:91], v[78:79] offset1:5
	ds_write2_b64 v102, v[68:69], v[12:13] offset0:10 offset1:15
	ds_write_b64 v102, v[10:11] offset:160
	;; [unrolled: 3-line block ×5, first 2 shown]
	v_mov_b32_e32 v12, 41
	v_mul_lo_u16_sdwa v8, v130, v12 dst_sel:DWORD dst_unused:UNUSED_PAD src0_sel:BYTE_0 src1_sel:DWORD
	v_lshrrev_b16_e32 v134, 10, v8
	v_mul_lo_u16_e32 v8, 25, v134
	v_sub_u16_e32 v154, v130, v8
	v_mul_lo_u16_sdwa v12, v147, v12 dst_sel:DWORD dst_unused:UNUSED_PAD src0_sel:BYTE_0 src1_sel:DWORD
	v_lshlrev_b32_sdwa v86, v114, v154 dst_sel:DWORD dst_unused:UNUSED_PAD src0_sel:DWORD src1_sel:BYTE_0
	v_lshrrev_b16_e32 v135, 10, v12
	s_waitcnt lgkmcnt(0)
	s_barrier
	global_load_dwordx4 v[8:11], v86, s[4:5] offset:336
	v_mul_lo_u16_e32 v12, 25, v135
	v_sub_u16_e32 v133, v147, v12
	v_lshlrev_b32_sdwa v87, v114, v133 dst_sel:DWORD dst_unused:UNUSED_PAD src0_sel:DWORD src1_sel:BYTE_0
	global_load_dwordx4 v[56:59], v87, s[4:5] offset:336
	global_load_dwordx4 v[52:55], v86, s[4:5] offset:368
	;; [unrolled: 1-line block ×4, first 2 shown]
	s_movk_i32 s14, 0x47af
	v_mul_u32_u24_sdwa v64, v126, s14 dst_sel:DWORD dst_unused:UNUSED_PAD src0_sel:WORD_0 src1_sel:DWORD
	v_sub_u16_sdwa v65, v126, v64 dst_sel:DWORD dst_unused:UNUSED_PAD src0_sel:DWORD src1_sel:WORD_1
	v_lshrrev_b16_e32 v65, 1, v65
	v_add_u16_sdwa v64, v65, v64 dst_sel:DWORD dst_unused:UNUSED_PAD src0_sel:DWORD src1_sel:WORD_1
	v_lshrrev_b16_e32 v155, 4, v64
	v_mul_lo_u16_e32 v64, 25, v155
	v_sub_u16_e32 v156, v126, v64
	v_lshlrev_b32_e32 v92, 6, v156
	global_load_dwordx4 v[76:79], v92, s[4:5] offset:320
	global_load_dwordx4 v[72:75], v87, s[4:5] offset:352
	;; [unrolled: 1-line block ×4, first 2 shown]
	v_mul_u32_u24_sdwa v87, v145, s14 dst_sel:DWORD dst_unused:UNUSED_PAD src0_sel:WORD_0 src1_sel:DWORD
	v_sub_u16_sdwa v88, v145, v87 dst_sel:DWORD dst_unused:UNUSED_PAD src0_sel:DWORD src1_sel:WORD_1
	v_lshrrev_b16_e32 v88, 1, v88
	v_mul_u32_u24_sdwa v104, v141, s14 dst_sel:DWORD dst_unused:UNUSED_PAD src0_sel:WORD_0 src1_sel:DWORD
	v_add_u16_sdwa v87, v88, v87 dst_sel:DWORD dst_unused:UNUSED_PAD src0_sel:DWORD src1_sel:WORD_1
	v_sub_u16_sdwa v105, v141, v104 dst_sel:DWORD dst_unused:UNUSED_PAD src0_sel:DWORD src1_sel:WORD_1
	v_lshrrev_b16_e32 v157, 4, v87
	v_lshrrev_b16_e32 v105, 1, v105
	v_mul_lo_u16_e32 v87, 25, v157
	v_add_u16_sdwa v104, v105, v104 dst_sel:DWORD dst_unused:UNUSED_PAD src0_sel:DWORD src1_sel:WORD_1
	v_sub_u16_e32 v158, v145, v87
	v_lshrrev_b16_e32 v159, 4, v104
	v_lshlrev_b32_e32 v87, 6, v158
	v_mul_lo_u16_e32 v104, 25, v159
	global_load_dwordx4 v[88:91], v87, s[4:5] offset:336
	s_nop 0
	global_load_dwordx4 v[92:95], v92, s[4:5] offset:368
	s_nop 0
	global_load_dwordx4 v[96:99], v87, s[4:5] offset:368
	global_load_dwordx4 v[100:103], v87, s[4:5] offset:320
	v_sub_u16_e32 v160, v141, v104
	v_lshlrev_b32_e32 v104, 6, v160
	global_load_dwordx4 v[106:109], v104, s[4:5] offset:320
	ds_read2_b64 v[110:113], v140 offset0:98 offset1:223
	ds_read2_b64 v[114:117], v138 offset0:68 offset1:193
	global_load_dwordx4 v[118:121], v86, s[4:5] offset:320
	global_load_dwordx4 v[162:165], v86, s[4:5] offset:352
	;; [unrolled: 1-line block ×4, first 2 shown]
	s_movk_i32 s14, 0x625
	s_waitcnt vmcnt(17) lgkmcnt(1)
	v_mul_f64 v[174:175], v[110:111], v[10:11]
	v_mul_f64 v[10:11], v[48:49], v[10:11]
	s_waitcnt vmcnt(16)
	v_mul_f64 v[122:123], v[112:113], v[58:59]
	v_fmac_f64_e32 v[174:175], v[48:49], v[8:9]
	v_fma_f64 v[176:177], v[110:111], v[8:9], -v[10:11]
	v_fmac_f64_e32 v[122:123], v[50:51], v[56:57]
	v_mul_f64 v[8:9], v[50:51], v[58:59]
	global_load_dwordx4 v[48:51], v104, s[4:5] offset:336
	v_fma_f64 v[56:57], v[112:113], v[56:57], -v[8:9]
	s_waitcnt vmcnt(16) lgkmcnt(0)
	v_mul_f64 v[178:179], v[114:115], v[54:55]
	v_mul_f64 v[8:9], v[44:45], v[54:55]
	s_waitcnt vmcnt(15)
	v_mul_f64 v[124:125], v[116:117], v[14:15]
	v_fmac_f64_e32 v[178:179], v[44:45], v[52:53]
	v_fma_f64 v[180:181], v[114:115], v[52:53], -v[8:9]
	v_fmac_f64_e32 v[124:125], v[46:47], v[12:13]
	v_mul_f64 v[8:9], v[46:47], v[14:15]
	global_load_dwordx4 v[44:47], v104, s[4:5] offset:368
	v_fma_f64 v[58:59], v[116:117], v[12:13], -v[8:9]
	ds_read2_b64 v[8:11], v143 offset0:110 offset1:235
	s_waitcnt vmcnt(15)
	v_mul_f64 v[12:13], v[40:41], v[62:63]
	ds_read2_b64 v[52:55], v146 offset0:92 offset1:217
	s_waitcnt lgkmcnt(1)
	v_mul_f64 v[182:183], v[8:9], v[62:63]
	v_fmac_f64_e32 v[182:183], v[40:41], v[60:61]
	v_fma_f64 v[40:41], v[8:9], v[60:61], -v[12:13]
	ds_read2_b64 v[12:15], v142 offset0:80 offset1:205
	ds_read2_b64 v[60:63], v144 offset0:62 offset1:187
	s_waitcnt vmcnt(14)
	v_mul_f64 v[112:113], v[10:11], v[78:79]
	v_mul_f64 v[8:9], v[42:43], v[78:79]
	v_fmac_f64_e32 v[112:113], v[42:43], v[76:77]
	v_fma_f64 v[76:77], v[10:11], v[76:77], -v[8:9]
	s_waitcnt vmcnt(13)
	v_mul_f64 v[8:9], v[36:37], v[74:75]
	s_waitcnt lgkmcnt(1)
	v_mul_f64 v[42:43], v[12:13], v[74:75]
	v_fma_f64 v[184:185], v[12:13], v[72:73], -v[8:9]
	s_waitcnt vmcnt(12)
	v_mul_f64 v[116:117], v[14:15], v[70:71]
	v_mul_f64 v[12:13], v[38:39], v[70:71]
	v_fmac_f64_e32 v[42:43], v[36:37], v[72:73]
	v_fmac_f64_e32 v[116:117], v[38:39], v[68:69]
	v_fma_f64 v[38:39], v[14:15], v[68:69], -v[12:13]
	s_waitcnt vmcnt(11)
	v_mul_f64 v[68:69], v[52:53], v[66:67]
	v_mul_f64 v[12:13], v[32:33], v[66:67]
	ds_read2_b64 v[70:73], v150 offset0:104 offset1:229
	v_fmac_f64_e32 v[68:69], v[32:33], v[64:65]
	v_fma_f64 v[74:75], v[52:53], v[64:65], -v[12:13]
	ds_read2_b64 v[12:15], v148 offset0:116 offset1:241
	s_waitcnt vmcnt(9) lgkmcnt(2)
	v_mul_f64 v[64:65], v[60:61], v[94:95]
	v_mul_f64 v[86:87], v[54:55], v[90:91]
	;; [unrolled: 1-line block ×3, first 2 shown]
	v_fmac_f64_e32 v[64:65], v[28:29], v[92:93]
	v_mul_f64 v[28:29], v[28:29], v[94:95]
	s_waitcnt vmcnt(8)
	v_mul_f64 v[78:79], v[62:63], v[98:99]
	v_fmac_f64_e32 v[86:87], v[34:35], v[88:89]
	v_fma_f64 v[36:37], v[54:55], v[88:89], -v[32:33]
	v_fma_f64 v[34:35], v[60:61], v[92:93], -v[28:29]
	v_fmac_f64_e32 v[78:79], v[30:31], v[96:97]
	v_mul_f64 v[28:29], v[30:31], v[98:99]
	ds_read2_b64 v[30:33], v149 offset0:86 offset1:211
	s_waitcnt vmcnt(7) lgkmcnt(2)
	v_mul_f64 v[104:105], v[70:71], v[102:103]
	ds_read2_b64 v[92:95], v151 offset0:74 offset1:199
	v_fmac_f64_e32 v[104:105], v[24:25], v[100:101]
	v_mul_f64 v[24:25], v[24:25], v[102:103]
	s_waitcnt vmcnt(5) lgkmcnt(2)
	v_mul_f64 v[60:61], v[14:15], v[120:121]
	v_fma_f64 v[88:89], v[70:71], v[100:101], -v[24:25]
	v_mul_f64 v[24:25], v[26:27], v[108:109]
	v_fmac_f64_e32 v[60:61], v[2:3], v[118:119]
	v_mul_f64 v[2:3], v[2:3], v[120:121]
	ds_read2_b64 v[8:11], v131 offset1:125
	v_fma_f64 v[28:29], v[62:63], v[96:97], -v[28:29]
	ds_read_b64 v[52:53], v137
	v_fma_f64 v[62:63], v[72:73], v[106:107], -v[24:25]
	ds_read_b64 v[54:55], v136
	ds_read_b64 v[24:25], v131 offset:24000
	v_fma_f64 v[14:15], v[14:15], v[118:119], -v[2:3]
	s_waitcnt vmcnt(4) lgkmcnt(5)
	v_mul_f64 v[70:71], v[32:33], v[164:165]
	v_mul_f64 v[2:3], v[18:19], v[164:165]
	v_fmac_f64_e32 v[70:71], v[18:19], v[162:163]
	v_fma_f64 v[18:19], v[32:33], v[162:163], -v[2:3]
	s_waitcnt vmcnt(3)
	v_mul_f64 v[2:3], v[20:21], v[168:169]
	s_waitcnt lgkmcnt(4)
	v_fma_f64 v[114:115], v[92:93], v[166:167], -v[2:3]
	v_mul_f64 v[90:91], v[72:73], v[108:109]
	v_fmac_f64_e32 v[90:91], v[26:27], v[106:107]
	v_mul_f64 v[120:121], v[92:93], v[168:169]
	s_waitcnt vmcnt(2)
	v_mul_f64 v[108:109], v[94:95], v[172:173]
	v_fmac_f64_e32 v[120:121], v[20:21], v[166:167]
	v_fmac_f64_e32 v[108:109], v[22:23], v[170:171]
	v_add_f64 v[20:21], v[176:177], -v[18:19]
	s_waitcnt vmcnt(1) lgkmcnt(0)
	v_mul_f64 v[2:3], v[16:17], v[50:51]
	v_fma_f64 v[102:103], v[30:31], v[48:49], -v[2:3]
	v_mul_f64 v[2:3], v[22:23], v[172:173]
	v_fma_f64 v[106:107], v[94:95], v[170:171], -v[2:3]
	v_mul_f64 v[92:93], v[30:31], v[50:51]
	v_fmac_f64_e32 v[92:93], v[16:17], v[48:49]
	v_add_f64 v[16:17], v[14:15], -v[180:181]
	v_add_f64 v[22:23], v[60:61], -v[174:175]
	s_barrier
	s_waitcnt vmcnt(0)
	v_mul_f64 v[2:3], v[84:85], v[46:47]
	v_fma_f64 v[110:111], v[24:25], v[44:45], -v[2:3]
	v_add_f64 v[2:3], v[4:5], v[60:61]
	v_add_f64 v[2:3], v[2:3], v[174:175]
	;; [unrolled: 1-line block ×5, first 2 shown]
	v_fma_f64 v[2:3], -0.5, v[2:3], v[4:5]
	v_mul_f64 v[118:119], v[24:25], v[46:47]
	v_fma_f64 v[30:31], s[2:3], v[16:17], v[2:3]
	v_add_f64 v[24:25], v[178:179], -v[70:71]
	v_fmac_f64_e32 v[2:3], s[10:11], v[16:17]
	v_fmac_f64_e32 v[30:31], s[6:7], v[20:21]
	v_add_f64 v[22:23], v[22:23], v[24:25]
	v_fmac_f64_e32 v[2:3], s[12:13], v[20:21]
	v_fmac_f64_e32 v[30:31], s[8:9], v[22:23]
	;; [unrolled: 1-line block ×3, first 2 shown]
	v_add_f64 v[22:23], v[60:61], v[178:179]
	v_fma_f64 v[48:49], -0.5, v[22:23], v[4:5]
	v_fma_f64 v[50:51], s[10:11], v[20:21], v[48:49]
	v_add_f64 v[4:5], v[174:175], -v[60:61]
	v_add_f64 v[22:23], v[70:71], -v[178:179]
	v_fmac_f64_e32 v[48:49], s[2:3], v[20:21]
	v_fmac_f64_e32 v[50:51], s[6:7], v[16:17]
	v_add_f64 v[4:5], v[4:5], v[22:23]
	v_fmac_f64_e32 v[48:49], s[12:13], v[16:17]
	v_fmac_f64_e32 v[50:51], s[8:9], v[4:5]
	v_fmac_f64_e32 v[48:49], s[8:9], v[4:5]
	v_add_f64 v[4:5], v[8:9], v[14:15]
	v_add_f64 v[4:5], v[4:5], v[176:177]
	;; [unrolled: 1-line block ×5, first 2 shown]
	v_fma_f64 v[66:67], -0.5, v[4:5], v[8:9]
	v_add_f64 v[4:5], v[60:61], -v[178:179]
	v_fma_f64 v[100:101], s[10:11], v[4:5], v[66:67]
	v_add_f64 v[16:17], v[174:175], -v[70:71]
	v_add_f64 v[20:21], v[14:15], -v[176:177]
	;; [unrolled: 1-line block ×3, first 2 shown]
	v_fmac_f64_e32 v[66:67], s[2:3], v[4:5]
	v_fmac_f64_e32 v[100:101], s[12:13], v[16:17]
	v_add_f64 v[20:21], v[20:21], v[22:23]
	v_fmac_f64_e32 v[66:67], s[6:7], v[16:17]
	v_fmac_f64_e32 v[100:101], s[8:9], v[20:21]
	;; [unrolled: 1-line block ×3, first 2 shown]
	v_add_f64 v[20:21], v[14:15], v[180:181]
	v_fma_f64 v[94:95], -0.5, v[20:21], v[8:9]
	v_fma_f64 v[96:97], s[2:3], v[16:17], v[94:95]
	v_fmac_f64_e32 v[94:95], s[10:11], v[16:17]
	v_fmac_f64_e32 v[96:97], s[12:13], v[4:5]
	;; [unrolled: 1-line block ×3, first 2 shown]
	v_add_f64 v[4:5], v[6:7], v[182:183]
	v_add_f64 v[4:5], v[4:5], v[122:123]
	;; [unrolled: 1-line block ×3, first 2 shown]
	v_fmac_f64_e32 v[118:119], v[84:85], v[44:45]
	v_add_f64 v[8:9], v[176:177], -v[14:15]
	v_add_f64 v[14:15], v[18:19], -v[180:181]
	v_add_f64 v[44:45], v[4:5], v[124:125]
	v_add_f64 v[4:5], v[122:123], v[42:43]
	;; [unrolled: 1-line block ×3, first 2 shown]
	v_fma_f64 v[20:21], -0.5, v[4:5], v[6:7]
	v_add_f64 v[4:5], v[40:41], -v[58:59]
	v_fmac_f64_e32 v[96:97], s[8:9], v[8:9]
	v_fmac_f64_e32 v[94:95], s[8:9], v[8:9]
	v_fma_f64 v[46:47], s[2:3], v[4:5], v[20:21]
	v_add_f64 v[8:9], v[56:57], -v[184:185]
	v_add_f64 v[14:15], v[182:183], -v[122:123]
	;; [unrolled: 1-line block ×3, first 2 shown]
	v_fmac_f64_e32 v[20:21], s[10:11], v[4:5]
	v_fmac_f64_e32 v[46:47], s[6:7], v[8:9]
	v_add_f64 v[14:15], v[14:15], v[16:17]
	v_fmac_f64_e32 v[20:21], s[12:13], v[8:9]
	v_fmac_f64_e32 v[46:47], s[8:9], v[14:15]
	;; [unrolled: 1-line block ×3, first 2 shown]
	v_add_f64 v[14:15], v[182:183], v[124:125]
	v_fmac_f64_e32 v[6:7], -0.5, v[14:15]
	v_fma_f64 v[60:61], s[10:11], v[8:9], v[6:7]
	v_fmac_f64_e32 v[6:7], s[2:3], v[8:9]
	v_fmac_f64_e32 v[60:61], s[6:7], v[4:5]
	;; [unrolled: 1-line block ×3, first 2 shown]
	v_add_f64 v[4:5], v[10:11], v[40:41]
	v_add_f64 v[4:5], v[4:5], v[56:57]
	;; [unrolled: 1-line block ×3, first 2 shown]
	v_add_f64 v[14:15], v[122:123], -v[182:183]
	v_add_f64 v[16:17], v[42:43], -v[124:125]
	v_add_f64 v[70:71], v[4:5], v[58:59]
	v_add_f64 v[4:5], v[56:57], v[184:185]
	;; [unrolled: 1-line block ×3, first 2 shown]
	v_fma_f64 v[8:9], -0.5, v[4:5], v[10:11]
	v_add_f64 v[4:5], v[182:183], -v[124:125]
	v_fmac_f64_e32 v[60:61], s[8:9], v[14:15]
	v_fmac_f64_e32 v[6:7], s[8:9], v[14:15]
	v_fma_f64 v[72:73], s[10:11], v[4:5], v[8:9]
	v_add_f64 v[16:17], v[122:123], -v[42:43]
	v_add_f64 v[14:15], v[40:41], -v[56:57]
	v_add_f64 v[18:19], v[58:59], -v[184:185]
	v_fmac_f64_e32 v[8:9], s[2:3], v[4:5]
	v_fmac_f64_e32 v[72:73], s[12:13], v[16:17]
	v_add_f64 v[14:15], v[14:15], v[18:19]
	v_fmac_f64_e32 v[8:9], s[6:7], v[16:17]
	v_fmac_f64_e32 v[72:73], s[8:9], v[14:15]
	;; [unrolled: 1-line block ×3, first 2 shown]
	v_add_f64 v[14:15], v[40:41], v[58:59]
	v_fmac_f64_e32 v[10:11], -0.5, v[14:15]
	v_fma_f64 v[14:15], s[2:3], v[16:17], v[10:11]
	v_fmac_f64_e32 v[10:11], s[10:11], v[16:17]
	v_fmac_f64_e32 v[14:15], s[12:13], v[4:5]
	;; [unrolled: 1-line block ×3, first 2 shown]
	v_add_f64 v[4:5], v[82:83], v[112:113]
	v_add_f64 v[4:5], v[4:5], v[68:69]
	v_add_f64 v[18:19], v[56:57], -v[40:41]
	v_add_f64 v[22:23], v[184:185], -v[58:59]
	v_add_f64 v[4:5], v[4:5], v[116:117]
	v_add_f64 v[18:19], v[18:19], v[22:23]
	;; [unrolled: 1-line block ×4, first 2 shown]
	v_fmac_f64_e32 v[14:15], s[8:9], v[18:19]
	v_fmac_f64_e32 v[10:11], s[8:9], v[18:19]
	v_fma_f64 v[18:19], -0.5, v[4:5], v[82:83]
	v_add_f64 v[4:5], v[76:77], -v[34:35]
	v_fma_f64 v[42:43], s[2:3], v[4:5], v[18:19]
	v_add_f64 v[16:17], v[74:75], -v[38:39]
	v_add_f64 v[22:23], v[112:113], -v[68:69]
	;; [unrolled: 1-line block ×3, first 2 shown]
	v_fmac_f64_e32 v[18:19], s[10:11], v[4:5]
	v_fmac_f64_e32 v[42:43], s[6:7], v[16:17]
	v_add_f64 v[22:23], v[22:23], v[24:25]
	v_fmac_f64_e32 v[18:19], s[12:13], v[16:17]
	v_fmac_f64_e32 v[42:43], s[8:9], v[22:23]
	;; [unrolled: 1-line block ×3, first 2 shown]
	v_add_f64 v[22:23], v[112:113], v[64:65]
	v_fmac_f64_e32 v[82:83], -0.5, v[22:23]
	v_fma_f64 v[32:33], s[10:11], v[16:17], v[82:83]
	v_fmac_f64_e32 v[82:83], s[2:3], v[16:17]
	v_fmac_f64_e32 v[32:33], s[6:7], v[4:5]
	;; [unrolled: 1-line block ×3, first 2 shown]
	v_add_f64 v[4:5], v[54:55], v[76:77]
	v_add_f64 v[4:5], v[4:5], v[74:75]
	;; [unrolled: 1-line block ×3, first 2 shown]
	v_add_f64 v[22:23], v[68:69], -v[112:113]
	v_add_f64 v[24:25], v[116:117], -v[64:65]
	v_add_f64 v[56:57], v[4:5], v[34:35]
	v_add_f64 v[4:5], v[74:75], v[38:39]
	;; [unrolled: 1-line block ×3, first 2 shown]
	v_fma_f64 v[58:59], -0.5, v[4:5], v[54:55]
	v_add_f64 v[4:5], v[112:113], -v[64:65]
	v_fmac_f64_e32 v[32:33], s[8:9], v[22:23]
	v_fmac_f64_e32 v[82:83], s[8:9], v[22:23]
	v_fma_f64 v[64:65], s[10:11], v[4:5], v[58:59]
	v_add_f64 v[16:17], v[68:69], -v[116:117]
	v_add_f64 v[22:23], v[76:77], -v[74:75]
	v_add_f64 v[24:25], v[34:35], -v[38:39]
	v_fmac_f64_e32 v[58:59], s[2:3], v[4:5]
	v_fmac_f64_e32 v[64:65], s[12:13], v[16:17]
	v_add_f64 v[22:23], v[22:23], v[24:25]
	v_fmac_f64_e32 v[58:59], s[6:7], v[16:17]
	v_fmac_f64_e32 v[64:65], s[8:9], v[22:23]
	;; [unrolled: 1-line block ×3, first 2 shown]
	v_add_f64 v[22:23], v[76:77], v[34:35]
	v_fmac_f64_e32 v[54:55], -0.5, v[22:23]
	v_fma_f64 v[68:69], s[2:3], v[16:17], v[54:55]
	v_fmac_f64_e32 v[54:55], s[10:11], v[16:17]
	v_fmac_f64_e32 v[68:69], s[12:13], v[4:5]
	;; [unrolled: 1-line block ×3, first 2 shown]
	v_add_f64 v[4:5], v[80:81], v[104:105]
	v_add_f64 v[4:5], v[4:5], v[86:87]
	;; [unrolled: 1-line block ×3, first 2 shown]
	v_add_f64 v[22:23], v[74:75], -v[76:77]
	v_add_f64 v[24:25], v[38:39], -v[34:35]
	v_add_f64 v[34:35], v[4:5], v[78:79]
	v_add_f64 v[4:5], v[86:87], v[120:121]
	v_add_f64 v[22:23], v[22:23], v[24:25]
	v_fma_f64 v[4:5], -0.5, v[4:5], v[80:81]
	v_add_f64 v[16:17], v[88:89], -v[28:29]
	v_fmac_f64_e32 v[68:69], s[8:9], v[22:23]
	v_fmac_f64_e32 v[54:55], s[8:9], v[22:23]
	v_fma_f64 v[38:39], s[2:3], v[16:17], v[4:5]
	v_add_f64 v[22:23], v[36:37], -v[114:115]
	v_add_f64 v[24:25], v[104:105], -v[86:87]
	v_add_f64 v[74:75], v[78:79], -v[120:121]
	v_fmac_f64_e32 v[4:5], s[10:11], v[16:17]
	v_fmac_f64_e32 v[38:39], s[6:7], v[22:23]
	v_add_f64 v[24:25], v[24:25], v[74:75]
	v_fmac_f64_e32 v[4:5], s[12:13], v[22:23]
	v_fmac_f64_e32 v[38:39], s[8:9], v[24:25]
	;; [unrolled: 1-line block ×3, first 2 shown]
	v_add_f64 v[24:25], v[104:105], v[78:79]
	v_fmac_f64_e32 v[80:81], -0.5, v[24:25]
	v_fma_f64 v[24:25], s[10:11], v[22:23], v[80:81]
	v_fmac_f64_e32 v[80:81], s[2:3], v[22:23]
	v_fmac_f64_e32 v[24:25], s[6:7], v[16:17]
	;; [unrolled: 1-line block ×3, first 2 shown]
	v_add_f64 v[16:17], v[52:53], v[88:89]
	v_add_f64 v[74:75], v[86:87], -v[104:105]
	v_add_f64 v[76:77], v[120:121], -v[78:79]
	v_add_f64 v[16:17], v[16:17], v[36:37]
	v_add_f64 v[74:75], v[74:75], v[76:77]
	;; [unrolled: 1-line block ×3, first 2 shown]
	v_fmac_f64_e32 v[24:25], s[8:9], v[74:75]
	v_fmac_f64_e32 v[80:81], s[8:9], v[74:75]
	v_add_f64 v[74:75], v[16:17], v[28:29]
	v_add_f64 v[16:17], v[36:37], v[114:115]
	v_fma_f64 v[76:77], -0.5, v[16:17], v[52:53]
	v_add_f64 v[16:17], v[104:105], -v[78:79]
	v_fma_f64 v[78:79], s[10:11], v[16:17], v[76:77]
	v_add_f64 v[22:23], v[86:87], -v[120:121]
	v_add_f64 v[84:85], v[88:89], -v[36:37]
	;; [unrolled: 1-line block ×3, first 2 shown]
	v_fmac_f64_e32 v[76:77], s[2:3], v[16:17]
	v_fmac_f64_e32 v[78:79], s[12:13], v[22:23]
	v_add_f64 v[84:85], v[84:85], v[86:87]
	v_fmac_f64_e32 v[76:77], s[6:7], v[22:23]
	v_fmac_f64_e32 v[78:79], s[8:9], v[84:85]
	;; [unrolled: 1-line block ×3, first 2 shown]
	v_add_f64 v[84:85], v[88:89], v[28:29]
	v_fmac_f64_e32 v[52:53], -0.5, v[84:85]
	v_fma_f64 v[84:85], s[2:3], v[22:23], v[52:53]
	v_fmac_f64_e32 v[52:53], s[10:11], v[22:23]
	v_fmac_f64_e32 v[84:85], s[12:13], v[16:17]
	;; [unrolled: 1-line block ×3, first 2 shown]
	v_add_f64 v[16:17], v[0:1], v[90:91]
	v_add_f64 v[16:17], v[16:17], v[92:93]
	;; [unrolled: 1-line block ×3, first 2 shown]
	v_add_f64 v[36:37], v[36:37], -v[88:89]
	v_add_f64 v[28:29], v[114:115], -v[28:29]
	v_add_f64 v[22:23], v[16:17], v[118:119]
	v_add_f64 v[16:17], v[92:93], v[108:109]
	;; [unrolled: 1-line block ×3, first 2 shown]
	v_fma_f64 v[16:17], -0.5, v[16:17], v[0:1]
	v_add_f64 v[86:87], v[62:63], -v[110:111]
	v_fmac_f64_e32 v[84:85], s[8:9], v[28:29]
	v_fmac_f64_e32 v[52:53], s[8:9], v[28:29]
	v_fma_f64 v[28:29], s[2:3], v[86:87], v[16:17]
	v_add_f64 v[88:89], v[102:103], -v[106:107]
	v_add_f64 v[36:37], v[90:91], -v[92:93]
	;; [unrolled: 1-line block ×3, first 2 shown]
	v_fmac_f64_e32 v[16:17], s[10:11], v[86:87]
	v_fmac_f64_e32 v[28:29], s[6:7], v[88:89]
	v_add_f64 v[36:37], v[36:37], v[104:105]
	v_fmac_f64_e32 v[16:17], s[12:13], v[88:89]
	v_fmac_f64_e32 v[28:29], s[8:9], v[36:37]
	;; [unrolled: 1-line block ×3, first 2 shown]
	v_add_f64 v[36:37], v[90:91], v[118:119]
	v_fmac_f64_e32 v[0:1], -0.5, v[36:37]
	v_fma_f64 v[36:37], s[10:11], v[88:89], v[0:1]
	v_add_f64 v[104:105], v[92:93], -v[90:91]
	v_add_f64 v[112:113], v[108:109], -v[118:119]
	v_fmac_f64_e32 v[0:1], s[2:3], v[88:89]
	v_fmac_f64_e32 v[36:37], s[6:7], v[86:87]
	v_add_f64 v[104:105], v[104:105], v[112:113]
	v_fmac_f64_e32 v[0:1], s[12:13], v[86:87]
	v_add_f64 v[88:89], v[102:103], v[106:107]
	v_fmac_f64_e32 v[36:37], s[8:9], v[104:105]
	v_fmac_f64_e32 v[0:1], s[8:9], v[104:105]
	v_fma_f64 v[88:89], -0.5, v[88:89], v[12:13]
	v_add_f64 v[104:105], v[90:91], -v[118:119]
	v_fma_f64 v[90:91], s[10:11], v[104:105], v[88:89]
	v_add_f64 v[108:109], v[92:93], -v[108:109]
	v_add_f64 v[92:93], v[62:63], -v[102:103]
	;; [unrolled: 1-line block ×3, first 2 shown]
	v_fmac_f64_e32 v[88:89], s[2:3], v[104:105]
	v_fmac_f64_e32 v[90:91], s[12:13], v[108:109]
	v_add_f64 v[92:93], v[92:93], v[112:113]
	v_fmac_f64_e32 v[88:89], s[6:7], v[108:109]
	v_fmac_f64_e32 v[90:91], s[8:9], v[92:93]
	;; [unrolled: 1-line block ×3, first 2 shown]
	v_add_f64 v[92:93], v[62:63], v[110:111]
	v_add_f64 v[86:87], v[12:13], v[62:63]
	v_fmac_f64_e32 v[12:13], -0.5, v[92:93]
	v_add_f64 v[86:87], v[86:87], v[102:103]
	v_fma_f64 v[92:93], s[2:3], v[108:109], v[12:13]
	v_add_f64 v[62:63], v[102:103], -v[62:63]
	v_add_f64 v[102:103], v[106:107], -v[110:111]
	v_fmac_f64_e32 v[12:13], s[10:11], v[108:109]
	v_fmac_f64_e32 v[92:93], s[12:13], v[104:105]
	v_add_f64 v[62:63], v[62:63], v[102:103]
	v_fmac_f64_e32 v[12:13], s[6:7], v[104:105]
	v_fmac_f64_e32 v[92:93], s[8:9], v[62:63]
	v_fmac_f64_e32 v[12:13], s[8:9], v[62:63]
	v_mul_u32_u24_e32 v62, 0x3e8, v134
	v_lshlrev_b32_sdwa v63, v132, v154 dst_sel:DWORD dst_unused:UNUSED_PAD src0_sel:DWORD src1_sel:BYTE_0
	v_add3_u32 v103, 0, v62, v63
	ds_write2_b64 v103, v[26:27], v[30:31] offset1:25
	ds_write2_b64 v103, v[50:51], v[48:49] offset0:50 offset1:75
	ds_write_b64 v103, v[2:3] offset:800
	v_mul_u32_u24_e32 v2, 0x3e8, v135
	v_lshlrev_b32_sdwa v3, v132, v133 dst_sel:DWORD dst_unused:UNUSED_PAD src0_sel:DWORD src1_sel:BYTE_0
	v_add3_u32 v102, 0, v2, v3
	v_mul_u32_u24_e32 v2, 0x3e8, v155
	v_lshlrev_b32_e32 v3, 3, v156
	v_add3_u32 v104, 0, v2, v3
	v_mul_u32_u24_e32 v2, 0x3e8, v157
	v_lshlrev_b32_e32 v3, 3, v158
	ds_write2_b64 v102, v[44:45], v[46:47] offset1:25
	ds_write2_b64 v102, v[60:61], v[6:7] offset0:50 offset1:75
	ds_write_b64 v102, v[20:21] offset:800
	ds_write2_b64 v104, v[40:41], v[42:43] offset1:25
	ds_write2_b64 v104, v[32:33], v[82:83] offset0:50 offset1:75
	ds_write_b64 v104, v[18:19] offset:800
	v_add3_u32 v82, 0, v2, v3
	v_mul_u32_u24_e32 v2, 0x3e8, v159
	v_lshlrev_b32_e32 v3, 3, v160
	v_add_f64 v[86:87], v[86:87], v[106:107]
	v_add3_u32 v83, 0, v2, v3
	v_add_f64 v[86:87], v[86:87], v[110:111]
	ds_write2_b64 v82, v[34:35], v[38:39] offset1:25
	ds_write2_b64 v82, v[24:25], v[80:81] offset0:50 offset1:75
	ds_write_b64 v82, v[4:5] offset:800
	ds_write2_b64 v83, v[22:23], v[28:29] offset1:25
	ds_write2_b64 v83, v[36:37], v[0:1] offset0:50 offset1:75
	ds_write_b64 v83, v[16:17] offset:800
	s_waitcnt lgkmcnt(0)
	s_barrier
	ds_read2_b64 v[4:7], v131 offset1:125
	ds_read2_b64 v[0:3], v148 offset0:116 offset1:241
	ds_read2_b64 v[48:51], v140 offset0:98 offset1:223
	ds_read2_b64 v[16:19], v149 offset0:86 offset1:211
	ds_read2_b64 v[44:47], v138 offset0:68 offset1:193
	ds_read2_b64 v[36:39], v143 offset0:110 offset1:235
	ds_read2_b64 v[28:31], v142 offset0:80 offset1:205
	ds_read2_b64 v[40:43], v146 offset0:92 offset1:217
	ds_read2_b64 v[32:35], v144 offset0:62 offset1:187
	ds_read_b64 v[60:61], v137
	ds_read2_b64 v[24:27], v150 offset0:104 offset1:229
	ds_read2_b64 v[20:23], v151 offset0:74 offset1:199
	ds_read_b64 v[62:63], v136
	ds_read_b64 v[80:81], v131 offset:24000
	s_waitcnt lgkmcnt(0)
	s_barrier
	ds_write2_b64 v103, v[98:99], v[100:101] offset1:25
	ds_write2_b64 v103, v[96:97], v[94:95] offset0:50 offset1:75
	ds_write_b64 v103, v[66:67] offset:800
	ds_write2_b64 v102, v[70:71], v[72:73] offset1:25
	ds_write2_b64 v102, v[14:15], v[10:11] offset0:50 offset1:75
	ds_write_b64 v102, v[8:9] offset:800
	;; [unrolled: 3-line block ×5, first 2 shown]
	v_mul_u32_u24_sdwa v12, v126, s14 dst_sel:DWORD dst_unused:UNUSED_PAD src0_sel:WORD_0 src1_sel:DWORD
	v_lshlrev_b32_e32 v132, 2, v130
	v_mov_b32_e32 v133, 0
	v_sub_u16_sdwa v13, v126, v12 dst_sel:DWORD dst_unused:UNUSED_PAD src0_sel:DWORD src1_sel:WORD_1
	v_lshl_add_u64 v[134:135], v[132:133], 4, s[4:5]
	v_lshrrev_b16_e32 v13, 1, v13
	s_waitcnt lgkmcnt(0)
	s_barrier
	global_load_dwordx4 v[8:11], v[134:135], off offset:1936
	global_load_dwordx4 v[52:55], v[134:135], off offset:1968
	v_add_u16_sdwa v12, v13, v12 dst_sel:DWORD dst_unused:UNUSED_PAD src0_sel:DWORD src1_sel:WORD_1
	v_lshrrev_b16_e32 v12, 6, v12
	v_mul_lo_u16_e32 v12, 0x7d, v12
	v_sub_u16_e32 v114, v126, v12
	v_lshlrev_b32_e32 v12, 6, v114
	v_mul_u32_u24_sdwa v13, v145, s14 dst_sel:DWORD dst_unused:UNUSED_PAD src0_sel:WORD_0 src1_sel:DWORD
	global_load_dwordx4 v[56:59], v12, s[4:5] offset:1936
	v_sub_u16_sdwa v14, v145, v13 dst_sel:DWORD dst_unused:UNUSED_PAD src0_sel:DWORD src1_sel:WORD_1
	v_lshrrev_b16_e32 v14, 1, v14
	v_add_u16_sdwa v13, v14, v13 dst_sel:DWORD dst_unused:UNUSED_PAD src0_sel:DWORD src1_sel:WORD_1
	v_lshrrev_b16_e32 v13, 6, v13
	v_mul_lo_u16_e32 v13, 0x7d, v13
	v_sub_u16_e32 v115, v145, v13
	v_lshlrev_b32_e32 v13, 6, v115
	global_load_dwordx4 v[70:73], v13, s[4:5] offset:1936
	global_load_dwordx4 v[74:77], v[134:135], off offset:1920
	global_load_dwordx4 v[84:87], v12, s[4:5] offset:1920
	global_load_dwordx4 v[88:91], v12, s[4:5] offset:1968
	;; [unrolled: 1-line block ×3, first 2 shown]
	global_load_dwordx4 v[100:103], v[134:135], off offset:1952
	global_load_dwordx4 v[104:107], v12, s[4:5] offset:1952
	v_mul_u32_u24_sdwa v12, v141, s14 dst_sel:DWORD dst_unused:UNUSED_PAD src0_sel:WORD_0 src1_sel:DWORD
	ds_read2_b64 v[66:69], v140 offset0:98 offset1:223
	global_load_dwordx4 v[108:111], v13, s[4:5] offset:1952
	global_load_dwordx4 v[118:121], v13, s[4:5] offset:1920
	v_sub_u16_sdwa v13, v141, v12 dst_sel:DWORD dst_unused:UNUSED_PAD src0_sel:DWORD src1_sel:WORD_1
	v_lshrrev_b16_e32 v13, 1, v13
	v_add_u16_sdwa v12, v13, v12 dst_sel:DWORD dst_unused:UNUSED_PAD src0_sel:DWORD src1_sel:WORD_1
	v_lshrrev_b16_e32 v12, 6, v12
	v_mul_lo_u16_e32 v12, 0x7d, v12
	v_sub_u16_e32 v116, v141, v12
	v_lshlrev_b32_e32 v82, 6, v116
	global_load_dwordx4 v[122:125], v82, s[4:5] offset:1936
	global_load_dwordx4 v[154:157], v82, s[4:5] offset:1920
	ds_read2_b64 v[12:15], v131 offset1:125
	ds_read2_b64 v[158:161], v138 offset0:68 offset1:193
	global_load_dwordx4 v[162:165], v82, s[4:5] offset:1968
	global_load_dwordx4 v[166:169], v82, s[4:5] offset:1952
	ds_read2_b64 v[170:173], v146 offset0:92 offset1:217
	s_movk_i32 s14, 0x4000
	s_waitcnt vmcnt(15) lgkmcnt(3)
	v_mul_f64 v[78:79], v[66:67], v[10:11]
	v_fmac_f64_e32 v[78:79], v[48:49], v[8:9]
	v_mul_f64 v[48:49], v[48:49], v[10:11]
	v_fma_f64 v[174:175], v[66:67], v[8:9], -v[48:49]
	s_waitcnt vmcnt(14) lgkmcnt(1)
	v_mul_f64 v[48:49], v[158:159], v[54:55]
	v_mul_f64 v[94:95], v[160:161], v[54:55]
	v_fmac_f64_e32 v[48:49], v[44:45], v[52:53]
	v_mul_f64 v[44:45], v[44:45], v[54:55]
	v_fmac_f64_e32 v[94:95], v[46:47], v[52:53]
	v_mul_f64 v[46:47], v[46:47], v[54:55]
	v_fma_f64 v[176:177], v[158:159], v[52:53], -v[44:45]
	v_fma_f64 v[46:47], v[160:161], v[52:53], -v[46:47]
	ds_read2_b64 v[158:161], v143 offset0:110 offset1:235
	v_mul_f64 v[64:65], v[68:69], v[10:11]
	v_mul_f64 v[10:11], v[50:51], v[10:11]
	v_fmac_f64_e32 v[64:65], v[50:51], v[8:9]
	v_fma_f64 v[50:51], v[68:69], v[8:9], -v[10:11]
	ds_read2_b64 v[8:11], v148 offset0:116 offset1:241
	s_waitcnt vmcnt(13) lgkmcnt(2)
	v_mul_f64 v[68:69], v[170:171], v[58:59]
	v_fmac_f64_e32 v[68:69], v[40:41], v[56:57]
	v_mul_f64 v[40:41], v[40:41], v[58:59]
	s_waitcnt vmcnt(12)
	v_mul_f64 v[44:45], v[42:43], v[72:73]
	v_fma_f64 v[66:67], v[170:171], v[56:57], -v[40:41]
	v_mul_f64 v[82:83], v[172:173], v[72:73]
	v_fma_f64 v[44:45], v[172:173], v[70:71], -v[44:45]
	ds_read2_b64 v[170:173], v144 offset0:62 offset1:187
	s_waitcnt vmcnt(11) lgkmcnt(2)
	v_mul_f64 v[54:55], v[158:159], v[76:77]
	s_waitcnt vmcnt(10)
	v_mul_f64 v[58:59], v[160:161], v[86:87]
	v_fmac_f64_e32 v[54:55], v[36:37], v[74:75]
	v_mul_f64 v[52:53], v[36:37], v[76:77]
	v_fmac_f64_e32 v[58:59], v[38:39], v[84:85]
	v_mul_f64 v[56:57], v[38:39], v[86:87]
	ds_read2_b64 v[36:39], v142 offset0:80 offset1:205
	v_fma_f64 v[52:53], v[158:159], v[74:75], -v[52:53]
	s_waitcnt lgkmcnt(2)
	v_mul_f64 v[158:159], v[10:11], v[76:77]
	v_fmac_f64_e32 v[158:159], v[2:3], v[74:75]
	v_mul_f64 v[2:3], v[2:3], v[76:77]
	v_fmac_f64_e32 v[82:83], v[42:43], v[70:71]
	v_fma_f64 v[70:71], v[160:161], v[84:85], -v[56:57]
	v_fma_f64 v[160:161], v[10:11], v[74:75], -v[2:3]
	s_waitcnt vmcnt(9) lgkmcnt(1)
	v_mul_f64 v[72:73], v[170:171], v[90:91]
	v_mul_f64 v[2:3], v[32:33], v[90:91]
	s_waitcnt vmcnt(8)
	v_mul_f64 v[86:87], v[172:173], v[98:99]
	ds_read2_b64 v[40:43], v149 offset0:86 offset1:211
	v_fmac_f64_e32 v[72:73], v[32:33], v[88:89]
	v_fma_f64 v[74:75], v[170:171], v[88:89], -v[2:3]
	v_fmac_f64_e32 v[86:87], v[34:35], v[96:97]
	v_mul_f64 v[2:3], v[34:35], v[98:99]
	ds_read_b64 v[34:35], v136
	ds_read_b64 v[32:33], v137
	ds_read2_b64 v[90:93], v150 offset0:104 offset1:229
	s_waitcnt vmcnt(6) lgkmcnt(4)
	v_mul_f64 v[98:99], v[38:39], v[106:107]
	v_mul_f64 v[10:11], v[30:31], v[106:107]
	v_fmac_f64_e32 v[98:99], v[30:31], v[104:105]
	v_fma_f64 v[76:77], v[38:39], v[104:105], -v[10:11]
	ds_read2_b64 v[104:107], v151 offset0:74 offset1:199
	v_fma_f64 v[84:85], v[172:173], v[96:97], -v[2:3]
	v_mul_f64 v[2:3], v[28:29], v[102:103]
	v_fma_f64 v[56:57], v[36:37], v[100:101], -v[2:3]
	v_mul_f64 v[2:3], v[18:19], v[102:103]
	s_waitcnt lgkmcnt(4)
	v_fma_f64 v[172:173], v[42:43], v[100:101], -v[2:3]
	s_waitcnt vmcnt(4) lgkmcnt(1)
	v_mul_f64 v[30:31], v[90:91], v[120:121]
	v_mul_f64 v[2:3], v[24:25], v[120:121]
	;; [unrolled: 1-line block ×3, first 2 shown]
	v_fmac_f64_e32 v[30:31], v[24:25], v[118:119]
	v_fma_f64 v[24:25], v[90:91], v[118:119], -v[2:3]
	v_mul_f64 v[2:3], v[20:21], v[110:111]
	v_fmac_f64_e32 v[96:97], v[28:29], v[100:101]
	s_waitcnt lgkmcnt(0)
	v_fma_f64 v[28:29], v[104:105], v[108:109], -v[2:3]
	ds_read_b64 v[2:3], v131 offset:24000
	v_mul_f64 v[170:171], v[42:43], v[102:103]
	s_waitcnt vmcnt(2)
	v_mul_f64 v[10:11], v[26:27], v[156:157]
	v_fmac_f64_e32 v[170:171], v[18:19], v[100:101]
	v_fma_f64 v[100:101], v[92:93], v[154:155], -v[10:11]
	v_mul_f64 v[10:11], v[16:17], v[124:125]
	v_fma_f64 v[102:103], v[40:41], v[122:123], -v[10:11]
	s_waitcnt vmcnt(0)
	v_mul_f64 v[10:11], v[22:23], v[168:169]
	v_mul_f64 v[90:91], v[104:105], v[110:111]
	;; [unrolled: 1-line block ×3, first 2 shown]
	v_fma_f64 v[106:107], v[106:107], v[166:167], -v[10:11]
	v_mul_f64 v[10:11], v[80:81], v[164:165]
	v_fmac_f64_e32 v[90:91], v[20:21], v[108:109]
	s_waitcnt lgkmcnt(0)
	v_mul_f64 v[112:113], v[2:3], v[164:165]
	v_fma_f64 v[108:109], v[2:3], v[162:163], -v[10:11]
	v_add_f64 v[2:3], v[4:5], v[158:159]
	v_add_f64 v[2:3], v[2:3], v[78:79]
	;; [unrolled: 1-line block ×5, first 2 shown]
	v_mul_f64 v[88:89], v[92:93], v[156:157]
	v_mul_f64 v[104:105], v[40:41], v[124:125]
	v_fma_f64 v[2:3], -0.5, v[2:3], v[4:5]
	v_add_f64 v[20:21], v[160:161], -v[176:177]
	v_fmac_f64_e32 v[88:89], v[26:27], v[154:155]
	v_fmac_f64_e32 v[104:105], v[16:17], v[122:123]
	;; [unrolled: 1-line block ×3, first 2 shown]
	v_fma_f64 v[16:17], s[2:3], v[20:21], v[2:3]
	v_add_f64 v[22:23], v[174:175], -v[172:173]
	v_add_f64 v[18:19], v[158:159], -v[78:79]
	;; [unrolled: 1-line block ×3, first 2 shown]
	v_fmac_f64_e32 v[2:3], s[10:11], v[20:21]
	v_fmac_f64_e32 v[16:17], s[6:7], v[22:23]
	v_add_f64 v[18:19], v[18:19], v[26:27]
	v_fmac_f64_e32 v[2:3], s[12:13], v[22:23]
	v_fmac_f64_e32 v[16:17], s[8:9], v[18:19]
	;; [unrolled: 1-line block ×3, first 2 shown]
	v_add_f64 v[18:19], v[158:159], v[48:49]
	v_fma_f64 v[4:5], -0.5, v[18:19], v[4:5]
	v_fma_f64 v[18:19], s[10:11], v[22:23], v[4:5]
	v_fmac_f64_e32 v[4:5], s[2:3], v[22:23]
	v_fmac_f64_e32 v[18:19], s[6:7], v[20:21]
	;; [unrolled: 1-line block ×3, first 2 shown]
	v_add_f64 v[20:21], v[12:13], v[160:161]
	v_add_f64 v[20:21], v[20:21], v[174:175]
	;; [unrolled: 1-line block ×3, first 2 shown]
	v_add_f64 v[26:27], v[78:79], -v[158:159]
	v_add_f64 v[36:37], v[170:171], -v[48:49]
	v_add_f64 v[38:39], v[20:21], v[176:177]
	v_add_f64 v[20:21], v[174:175], v[172:173]
	;; [unrolled: 1-line block ×3, first 2 shown]
	v_fma_f64 v[36:37], -0.5, v[20:21], v[12:13]
	v_add_f64 v[20:21], v[158:159], -v[48:49]
	v_fmac_f64_e32 v[18:19], s[8:9], v[26:27]
	v_fmac_f64_e32 v[4:5], s[8:9], v[26:27]
	v_fma_f64 v[40:41], s[10:11], v[20:21], v[36:37]
	v_add_f64 v[22:23], v[78:79], -v[170:171]
	v_add_f64 v[26:27], v[160:161], -v[174:175]
	;; [unrolled: 1-line block ×3, first 2 shown]
	v_fmac_f64_e32 v[36:37], s[2:3], v[20:21]
	v_fmac_f64_e32 v[40:41], s[12:13], v[22:23]
	v_add_f64 v[26:27], v[26:27], v[42:43]
	v_fmac_f64_e32 v[36:37], s[6:7], v[22:23]
	v_fmac_f64_e32 v[40:41], s[8:9], v[26:27]
	;; [unrolled: 1-line block ×3, first 2 shown]
	v_add_f64 v[26:27], v[160:161], v[176:177]
	v_fma_f64 v[42:43], -0.5, v[26:27], v[12:13]
	v_fma_f64 v[48:49], s[2:3], v[22:23], v[42:43]
	v_add_f64 v[12:13], v[174:175], -v[160:161]
	v_add_f64 v[26:27], v[172:173], -v[176:177]
	v_fmac_f64_e32 v[42:43], s[10:11], v[22:23]
	v_fmac_f64_e32 v[48:49], s[12:13], v[20:21]
	v_add_f64 v[12:13], v[12:13], v[26:27]
	v_fmac_f64_e32 v[42:43], s[6:7], v[20:21]
	v_fmac_f64_e32 v[48:49], s[8:9], v[12:13]
	;; [unrolled: 1-line block ×3, first 2 shown]
	v_add_f64 v[12:13], v[6:7], v[54:55]
	v_add_f64 v[12:13], v[12:13], v[64:65]
	;; [unrolled: 1-line block ×5, first 2 shown]
	v_fma_f64 v[12:13], -0.5, v[12:13], v[6:7]
	v_add_f64 v[78:79], v[52:53], -v[46:47]
	v_fmac_f64_e32 v[112:113], v[80:81], v[162:163]
	v_fma_f64 v[22:23], s[2:3], v[78:79], v[12:13]
	v_add_f64 v[80:81], v[50:51], -v[56:57]
	v_add_f64 v[26:27], v[54:55], -v[64:65]
	;; [unrolled: 1-line block ×3, first 2 shown]
	v_fmac_f64_e32 v[12:13], s[10:11], v[78:79]
	v_fmac_f64_e32 v[22:23], s[6:7], v[80:81]
	v_add_f64 v[26:27], v[26:27], v[92:93]
	v_fmac_f64_e32 v[12:13], s[12:13], v[80:81]
	v_fmac_f64_e32 v[22:23], s[8:9], v[26:27]
	;; [unrolled: 1-line block ×3, first 2 shown]
	v_add_f64 v[26:27], v[54:55], v[94:95]
	v_fmac_f64_e32 v[6:7], -0.5, v[26:27]
	v_fma_f64 v[26:27], s[10:11], v[80:81], v[6:7]
	v_fmac_f64_e32 v[6:7], s[2:3], v[80:81]
	v_fmac_f64_e32 v[26:27], s[6:7], v[78:79]
	v_fmac_f64_e32 v[6:7], s[12:13], v[78:79]
	v_add_f64 v[78:79], v[14:15], v[52:53]
	v_add_f64 v[92:93], v[64:65], -v[54:55]
	v_add_f64 v[118:119], v[96:97], -v[94:95]
	v_add_f64 v[78:79], v[78:79], v[50:51]
	v_add_f64 v[92:93], v[92:93], v[118:119]
	;; [unrolled: 1-line block ×3, first 2 shown]
	v_fmac_f64_e32 v[26:27], s[8:9], v[92:93]
	v_fmac_f64_e32 v[6:7], s[8:9], v[92:93]
	v_add_f64 v[92:93], v[78:79], v[46:47]
	v_add_f64 v[78:79], v[50:51], v[56:57]
	v_fma_f64 v[78:79], -0.5, v[78:79], v[14:15]
	v_add_f64 v[54:55], v[54:55], -v[94:95]
	v_fma_f64 v[94:95], s[10:11], v[54:55], v[78:79]
	v_add_f64 v[64:65], v[64:65], -v[96:97]
	v_add_f64 v[80:81], v[52:53], -v[50:51]
	;; [unrolled: 1-line block ×3, first 2 shown]
	v_fmac_f64_e32 v[78:79], s[2:3], v[54:55]
	v_fmac_f64_e32 v[94:95], s[12:13], v[64:65]
	v_add_f64 v[80:81], v[80:81], v[96:97]
	v_fmac_f64_e32 v[78:79], s[6:7], v[64:65]
	v_fmac_f64_e32 v[94:95], s[8:9], v[80:81]
	;; [unrolled: 1-line block ×3, first 2 shown]
	v_add_f64 v[80:81], v[52:53], v[46:47]
	v_fmac_f64_e32 v[14:15], -0.5, v[80:81]
	v_fma_f64 v[96:97], s[2:3], v[64:65], v[14:15]
	v_add_f64 v[50:51], v[50:51], -v[52:53]
	v_add_f64 v[46:47], v[56:57], -v[46:47]
	v_fmac_f64_e32 v[14:15], s[10:11], v[64:65]
	v_fmac_f64_e32 v[96:97], s[12:13], v[54:55]
	v_add_f64 v[46:47], v[50:51], v[46:47]
	v_fmac_f64_e32 v[14:15], s[6:7], v[54:55]
	v_fmac_f64_e32 v[96:97], s[8:9], v[46:47]
	;; [unrolled: 1-line block ×3, first 2 shown]
	v_add_f64 v[46:47], v[62:63], v[58:59]
	v_add_f64 v[46:47], v[46:47], v[68:69]
	;; [unrolled: 1-line block ×5, first 2 shown]
	v_fma_f64 v[46:47], -0.5, v[46:47], v[62:63]
	v_add_f64 v[50:51], v[70:71], -v[74:75]
	v_fma_f64 v[54:55], s[2:3], v[50:51], v[46:47]
	v_add_f64 v[56:57], v[66:67], -v[76:77]
	v_add_f64 v[64:65], v[58:59], -v[68:69]
	;; [unrolled: 1-line block ×3, first 2 shown]
	v_fmac_f64_e32 v[46:47], s[10:11], v[50:51]
	v_fmac_f64_e32 v[54:55], s[6:7], v[56:57]
	v_add_f64 v[64:65], v[64:65], v[80:81]
	v_fmac_f64_e32 v[46:47], s[12:13], v[56:57]
	v_fmac_f64_e32 v[54:55], s[8:9], v[64:65]
	;; [unrolled: 1-line block ×3, first 2 shown]
	v_add_f64 v[64:65], v[58:59], v[72:73]
	v_fmac_f64_e32 v[62:63], -0.5, v[64:65]
	v_fma_f64 v[64:65], s[10:11], v[56:57], v[62:63]
	v_add_f64 v[80:81], v[68:69], -v[58:59]
	v_add_f64 v[118:119], v[98:99], -v[72:73]
	v_fmac_f64_e32 v[62:63], s[2:3], v[56:57]
	v_fmac_f64_e32 v[64:65], s[6:7], v[50:51]
	v_add_f64 v[80:81], v[80:81], v[118:119]
	v_fmac_f64_e32 v[62:63], s[12:13], v[50:51]
	v_add_f64 v[56:57], v[66:67], v[76:77]
	v_fmac_f64_e32 v[64:65], s[8:9], v[80:81]
	v_fmac_f64_e32 v[62:63], s[8:9], v[80:81]
	v_fma_f64 v[56:57], -0.5, v[56:57], v[34:35]
	v_add_f64 v[80:81], v[58:59], -v[72:73]
	v_fma_f64 v[58:59], s[10:11], v[80:81], v[56:57]
	v_add_f64 v[68:69], v[68:69], -v[98:99]
	v_add_f64 v[72:73], v[70:71], -v[66:67]
	;; [unrolled: 1-line block ×3, first 2 shown]
	v_fmac_f64_e32 v[56:57], s[2:3], v[80:81]
	v_fmac_f64_e32 v[58:59], s[12:13], v[68:69]
	v_add_f64 v[72:73], v[72:73], v[98:99]
	v_fmac_f64_e32 v[56:57], s[6:7], v[68:69]
	v_fmac_f64_e32 v[58:59], s[8:9], v[72:73]
	v_fmac_f64_e32 v[56:57], s[8:9], v[72:73]
	v_add_f64 v[72:73], v[70:71], v[74:75]
	v_add_f64 v[50:51], v[34:35], v[70:71]
	v_fmac_f64_e32 v[34:35], -0.5, v[72:73]
	v_add_f64 v[50:51], v[50:51], v[66:67]
	v_fma_f64 v[72:73], s[2:3], v[68:69], v[34:35]
	v_add_f64 v[66:67], v[66:67], -v[70:71]
	v_add_f64 v[70:71], v[76:77], -v[74:75]
	v_fmac_f64_e32 v[34:35], s[10:11], v[68:69]
	v_fmac_f64_e32 v[72:73], s[12:13], v[80:81]
	v_add_f64 v[66:67], v[66:67], v[70:71]
	v_fmac_f64_e32 v[34:35], s[6:7], v[80:81]
	v_fmac_f64_e32 v[72:73], s[8:9], v[66:67]
	;; [unrolled: 1-line block ×3, first 2 shown]
	v_add_f64 v[66:67], v[60:61], v[30:31]
	v_add_f64 v[66:67], v[66:67], v[82:83]
	;; [unrolled: 1-line block ×7, first 2 shown]
	v_fma_f64 v[66:67], -0.5, v[66:67], v[60:61]
	v_add_f64 v[74:75], v[24:25], -v[84:85]
	v_fma_f64 v[70:71], s[2:3], v[74:75], v[66:67]
	v_add_f64 v[76:77], v[44:45], -v[28:29]
	v_add_f64 v[80:81], v[30:31], -v[82:83]
	v_add_f64 v[98:99], v[86:87], -v[90:91]
	v_fmac_f64_e32 v[66:67], s[10:11], v[74:75]
	v_fmac_f64_e32 v[70:71], s[6:7], v[76:77]
	v_add_f64 v[80:81], v[80:81], v[98:99]
	v_fmac_f64_e32 v[66:67], s[12:13], v[76:77]
	v_fmac_f64_e32 v[70:71], s[8:9], v[80:81]
	;; [unrolled: 1-line block ×3, first 2 shown]
	v_add_f64 v[80:81], v[30:31], v[86:87]
	v_fmac_f64_e32 v[60:61], -0.5, v[80:81]
	v_fma_f64 v[98:99], s[10:11], v[76:77], v[60:61]
	v_add_f64 v[80:81], v[82:83], -v[30:31]
	v_add_f64 v[118:119], v[90:91], -v[86:87]
	v_fmac_f64_e32 v[60:61], s[2:3], v[76:77]
	v_add_f64 v[76:77], v[44:45], v[28:29]
	v_fmac_f64_e32 v[98:99], s[6:7], v[74:75]
	v_add_f64 v[80:81], v[80:81], v[118:119]
	v_fmac_f64_e32 v[60:61], s[12:13], v[74:75]
	v_fma_f64 v[76:77], -0.5, v[76:77], v[32:33]
	v_add_f64 v[30:31], v[30:31], -v[86:87]
	v_fmac_f64_e32 v[98:99], s[8:9], v[80:81]
	v_fmac_f64_e32 v[60:61], s[8:9], v[80:81]
	v_fma_f64 v[80:81], s[10:11], v[30:31], v[76:77]
	v_add_f64 v[86:87], v[82:83], -v[90:91]
	v_add_f64 v[82:83], v[24:25], -v[44:45]
	;; [unrolled: 1-line block ×3, first 2 shown]
	v_fmac_f64_e32 v[76:77], s[2:3], v[30:31]
	v_fmac_f64_e32 v[80:81], s[12:13], v[86:87]
	v_add_f64 v[82:83], v[82:83], v[90:91]
	v_fmac_f64_e32 v[76:77], s[6:7], v[86:87]
	v_add_f64 v[74:75], v[32:33], v[24:25]
	v_fmac_f64_e32 v[80:81], s[8:9], v[82:83]
	v_fmac_f64_e32 v[76:77], s[8:9], v[82:83]
	v_add_f64 v[82:83], v[24:25], v[84:85]
	v_add_f64 v[74:75], v[74:75], v[44:45]
	v_fmac_f64_e32 v[32:33], -0.5, v[82:83]
	v_add_f64 v[74:75], v[74:75], v[28:29]
	v_fma_f64 v[82:83], s[2:3], v[86:87], v[32:33]
	v_add_f64 v[24:25], v[44:45], -v[24:25]
	v_add_f64 v[28:29], v[28:29], -v[84:85]
	v_fmac_f64_e32 v[32:33], s[10:11], v[86:87]
	v_fmac_f64_e32 v[82:83], s[12:13], v[30:31]
	v_add_f64 v[24:25], v[24:25], v[28:29]
	v_fmac_f64_e32 v[32:33], s[6:7], v[30:31]
	v_fmac_f64_e32 v[82:83], s[8:9], v[24:25]
	;; [unrolled: 1-line block ×3, first 2 shown]
	v_add_f64 v[24:25], v[0:1], v[88:89]
	v_add_f64 v[24:25], v[24:25], v[104:105]
	;; [unrolled: 1-line block ×6, first 2 shown]
	v_fma_f64 v[24:25], -0.5, v[24:25], v[0:1]
	v_add_f64 v[84:85], v[100:101], -v[108:109]
	v_fma_f64 v[30:31], s[2:3], v[84:85], v[24:25]
	v_add_f64 v[86:87], v[102:103], -v[106:107]
	v_add_f64 v[44:45], v[88:89], -v[104:105]
	;; [unrolled: 1-line block ×3, first 2 shown]
	v_fmac_f64_e32 v[24:25], s[10:11], v[84:85]
	v_fmac_f64_e32 v[30:31], s[6:7], v[86:87]
	v_add_f64 v[44:45], v[44:45], v[90:91]
	v_fmac_f64_e32 v[24:25], s[12:13], v[86:87]
	v_fmac_f64_e32 v[30:31], s[8:9], v[44:45]
	;; [unrolled: 1-line block ×3, first 2 shown]
	v_add_f64 v[44:45], v[88:89], v[112:113]
	v_fmac_f64_e32 v[0:1], -0.5, v[44:45]
	v_fma_f64 v[44:45], s[10:11], v[86:87], v[0:1]
	v_add_f64 v[90:91], v[104:105], -v[88:89]
	v_add_f64 v[118:119], v[110:111], -v[112:113]
	v_fmac_f64_e32 v[0:1], s[2:3], v[86:87]
	v_add_f64 v[86:87], v[102:103], v[106:107]
	v_fmac_f64_e32 v[44:45], s[6:7], v[84:85]
	v_add_f64 v[90:91], v[90:91], v[118:119]
	v_fmac_f64_e32 v[0:1], s[12:13], v[84:85]
	v_fma_f64 v[86:87], -0.5, v[86:87], v[8:9]
	v_add_f64 v[112:113], v[88:89], -v[112:113]
	v_fmac_f64_e32 v[44:45], s[8:9], v[90:91]
	v_fmac_f64_e32 v[0:1], s[8:9], v[90:91]
	v_fma_f64 v[88:89], s[10:11], v[112:113], v[86:87]
	v_add_f64 v[104:105], v[104:105], -v[110:111]
	v_add_f64 v[90:91], v[100:101], -v[102:103]
	;; [unrolled: 1-line block ×3, first 2 shown]
	v_fmac_f64_e32 v[86:87], s[2:3], v[112:113]
	v_fmac_f64_e32 v[88:89], s[12:13], v[104:105]
	v_add_f64 v[90:91], v[90:91], v[110:111]
	v_fmac_f64_e32 v[86:87], s[6:7], v[104:105]
	v_add_f64 v[84:85], v[8:9], v[100:101]
	v_fmac_f64_e32 v[88:89], s[8:9], v[90:91]
	v_fmac_f64_e32 v[86:87], s[8:9], v[90:91]
	v_add_f64 v[90:91], v[100:101], v[108:109]
	v_add_f64 v[84:85], v[84:85], v[102:103]
	v_fmac_f64_e32 v[8:9], -0.5, v[90:91]
	v_add_f64 v[84:85], v[84:85], v[106:107]
	v_fma_f64 v[90:91], s[2:3], v[104:105], v[8:9]
	v_fmac_f64_e32 v[8:9], s[10:11], v[104:105]
	v_lshl_add_u32 v104, v114, 3, 0
	v_add_f64 v[84:85], v[84:85], v[108:109]
	v_add_f64 v[100:101], v[102:103], -v[100:101]
	v_add_f64 v[102:103], v[106:107], -v[108:109]
	v_add_u32_e32 v108, 0x400, v131
	v_add_u32_e32 v105, 0x2400, v104
	;; [unrolled: 1-line block ×3, first 2 shown]
	s_barrier
	ds_write2_b64 v131, v[10:11], v[16:17] offset1:125
	ds_write2_b64 v108, v[18:19], v[4:5] offset0:122 offset1:247
	ds_write2_b64 v148, v[2:3], v[20:21] offset0:116 offset1:241
	ds_write2_b64 v143, v[22:23], v[26:27] offset0:110 offset1:235
	ds_write2_b64 v150, v[6:7], v[12:13] offset0:104 offset1:229
	ds_write2_b64 v105, v[52:53], v[54:55] offset0:98 offset1:223
	ds_write2_b64 v106, v[64:65], v[62:63] offset0:92 offset1:217
	ds_write_b64 v104, v[46:47] offset:14000
	v_lshl_add_u32 v62, v115, 3, 0
	v_add_u32_e32 v63, 0x3800, v62
	v_add_u32_e32 v107, 0x4000, v62
	ds_write2_b64 v63, v[68:69], v[70:71] offset0:83 offset1:208
	ds_write2_b64 v107, v[98:99], v[60:61] offset0:77 offset1:202
	ds_write_b64 v62, v[66:67] offset:19000
	v_lshl_add_u32 v60, v116, 3, 0
	v_fmac_f64_e32 v[90:91], s[12:13], v[112:113]
	v_add_f64 v[100:101], v[100:101], v[102:103]
	v_fmac_f64_e32 v[8:9], s[6:7], v[112:113]
	v_add_u32_e32 v61, 0x4c00, v60
	v_add_u32_e32 v98, 0x5400, v60
	v_fmac_f64_e32 v[90:91], s[8:9], v[100:101]
	v_fmac_f64_e32 v[8:9], s[8:9], v[100:101]
	ds_write2_b64 v61, v[28:29], v[30:31] offset0:68 offset1:193
	ds_write2_b64 v98, v[44:45], v[0:1] offset0:62 offset1:187
	ds_write_b64 v60, v[24:25] offset:24000
	s_waitcnt lgkmcnt(0)
	s_barrier
	ds_read2_b64 v[0:3], v131 offset1:125
	ds_read2_b64 v[4:7], v148 offset0:116 offset1:241
	ds_read2_b64 v[20:23], v140 offset0:98 offset1:223
	ds_read2_b64 v[16:19], v149 offset0:86 offset1:211
	ds_read2_b64 v[10:13], v138 offset0:68 offset1:193
	ds_read2_b64 v[24:27], v143 offset0:110 offset1:235
	ds_read2_b64 v[28:31], v142 offset0:80 offset1:205
	ds_read2_b64 v[52:55], v146 offset0:92 offset1:217
	ds_read2_b64 v[44:47], v144 offset0:62 offset1:187
	ds_read_b64 v[100:101], v137
	ds_read2_b64 v[64:67], v150 offset0:104 offset1:229
	ds_read2_b64 v[68:71], v151 offset0:74 offset1:199
	ds_read_b64 v[136:137], v136
	ds_read_b64 v[102:103], v131 offset:24000
	s_waitcnt lgkmcnt(0)
	s_barrier
	ds_write2_b64 v131, v[38:39], v[40:41] offset1:125
	ds_write2_b64 v108, v[48:49], v[42:43] offset0:122 offset1:247
	ds_write2_b64 v148, v[36:37], v[92:93] offset0:116 offset1:241
	ds_write2_b64 v143, v[94:95], v[96:97] offset0:110 offset1:235
	ds_write2_b64 v150, v[14:15], v[78:79] offset0:104 offset1:229
	ds_write2_b64 v105, v[50:51], v[58:59] offset0:98 offset1:223
	ds_write2_b64 v106, v[72:73], v[34:35] offset0:92 offset1:217
	ds_write_b64 v104, v[56:57] offset:14000
	ds_write2_b64 v63, v[74:75], v[80:81] offset0:83 offset1:208
	ds_write2_b64 v107, v[82:83], v[32:33] offset0:77 offset1:202
	ds_write_b64 v62, v[76:77] offset:19000
	ds_write2_b64 v61, v[84:85], v[88:89] offset0:68 offset1:193
	ds_write2_b64 v98, v[90:91], v[8:9] offset0:62 offset1:187
	ds_write_b64 v60, v[86:87] offset:24000
	s_waitcnt lgkmcnt(0)
	s_barrier
	s_and_saveexec_b64 s[16:17], s[0:1]
	s_cbranch_execz .LBB0_13
; %bb.12:
	v_lshlrev_b32_e32 v132, 2, v141
	v_lshl_add_u64 v[8:9], v[132:133], 4, s[4:5]
	s_mov_b64 s[0:1], 0x26c0
	v_lshl_add_u64 v[14:15], v[8:9], 0, s[0:1]
	v_add_co_u32_e32 v8, vcc, 0x2000, v8
	global_load_dwordx4 v[32:35], v[14:15], off offset:32
	global_load_dwordx4 v[36:39], v[14:15], off offset:16
	v_addc_co_u32_e32 v9, vcc, 0, v9, vcc
	global_load_dwordx4 v[40:43], v[8:9], off offset:1728
	global_load_dwordx4 v[48:51], v[14:15], off offset:48
	v_lshlrev_b32_e32 v132, 2, v145
	v_lshl_add_u64 v[80:81], v[132:133], 4, s[4:5]
	v_lshl_add_u64 v[82:83], v[80:81], 0, s[0:1]
	s_movk_i32 s15, 0x2000
	ds_read2_b64 v[56:59], v149 offset0:86 offset1:211
	ds_read2_b64 v[72:75], v150 offset0:104 offset1:229
	;; [unrolled: 1-line block ×3, first 2 shown]
	ds_read_b64 v[14:15], v131 offset:24000
	ds_read2_b64 v[60:63], v148 offset0:116 offset1:241
	global_load_dwordx4 v[84:87], v[82:83], off offset:32
	global_load_dwordx4 v[96:99], v[82:83], off offset:16
	v_add_co_u32_e32 v80, vcc, s15, v80
	v_lshlrev_b32_e32 v132, 2, v126
	s_nop 0
	v_addc_co_u32_e32 v81, vcc, 0, v81, vcc
	global_load_dwordx4 v[92:95], v[80:81], off offset:1728
	global_load_dwordx4 v[88:91], v[82:83], off offset:48
	v_sub_u32_e32 v9, 0, v153
	v_add_u32_e32 v9, v127, v9
	v_sub_u32_e32 v8, 0, v152
	v_add_u32_e32 v8, v139, v8
	s_waitcnt vmcnt(7)
	v_mul_f64 v[82:83], v[70:71], v[34:35]
	s_waitcnt vmcnt(6)
	v_mul_f64 v[80:81], v[16:17], v[38:39]
	s_waitcnt lgkmcnt(2)
	v_mul_f64 v[106:107], v[78:79], v[34:35]
	v_mul_f64 v[104:105], v[56:57], v[38:39]
	v_fma_f64 v[34:35], v[36:37], v[56:57], -v[80:81]
	s_waitcnt vmcnt(5)
	v_mul_f64 v[38:39], v[66:67], v[42:43]
	v_fma_f64 v[56:57], v[32:33], v[78:79], -v[82:83]
	s_waitcnt vmcnt(4)
	v_mul_f64 v[78:79], v[102:103], v[50:51]
	v_fmac_f64_e32 v[106:107], v[70:71], v[32:33]
	v_mul_f64 v[70:71], v[74:75], v[42:43]
	s_waitcnt lgkmcnt(1)
	v_mul_f64 v[80:81], v[14:15], v[50:51]
	v_fmac_f64_e32 v[104:105], v[16:17], v[36:37]
	v_fma_f64 v[16:17], v[40:41], v[74:75], -v[38:39]
	v_fma_f64 v[14:15], v[48:49], v[14:15], -v[78:79]
	v_fmac_f64_e32 v[70:71], v[66:67], v[40:41]
	v_fmac_f64_e32 v[80:81], v[102:103], v[48:49]
	v_add_f64 v[36:37], v[34:35], v[56:57]
	v_add_f64 v[38:39], v[34:35], -v[16:17]
	v_add_f64 v[40:41], v[56:57], -v[14:15]
	v_add_f64 v[50:51], v[16:17], v[14:15]
	v_add_f64 v[66:67], v[70:71], -v[80:81]
	s_waitcnt lgkmcnt(0)
	v_fma_f64 v[42:43], -0.5, v[36:37], v[60:61]
	v_add_f64 v[36:37], v[16:17], v[60:61]
	v_add_f64 v[32:33], v[104:105], -v[106:107]
	v_add_f64 v[74:75], v[16:17], -v[34:35]
	;; [unrolled: 1-line block ×4, first 2 shown]
	v_add_f64 v[40:41], v[38:39], v[40:41]
	v_fma_f64 v[38:39], -0.5, v[50:51], v[60:61]
	v_fma_f64 v[16:17], s[2:3], v[66:67], v[42:43]
	v_fmac_f64_e32 v[42:43], s[10:11], v[66:67]
	v_add_f64 v[60:61], v[34:35], v[36:37]
	v_add_f64 v[48:49], v[34:35], -v[56:57]
	v_add_f64 v[50:51], v[74:75], v[78:79]
	v_fmac_f64_e32 v[16:17], s[6:7], v[32:33]
	v_fmac_f64_e32 v[42:43], s[12:13], v[32:33]
	v_add_f64 v[56:57], v[56:57], v[60:61]
	v_add_f64 v[112:113], v[70:71], -v[104:105]
	v_fma_f64 v[34:35], s[10:11], v[32:33], v[38:39]
	v_fmac_f64_e32 v[38:39], s[2:3], v[32:33]
	v_fmac_f64_e32 v[16:17], s[8:9], v[50:51]
	;; [unrolled: 1-line block ×3, first 2 shown]
	v_add_f64 v[50:51], v[14:15], v[56:57]
	v_add_f64 v[14:15], v[80:81], -v[106:107]
	v_fmac_f64_e32 v[34:35], s[6:7], v[66:67]
	v_fmac_f64_e32 v[38:39], s[12:13], v[66:67]
	v_add_f64 v[56:57], v[112:113], v[14:15]
	v_add_f64 v[14:15], v[104:105], v[106:107]
	v_fmac_f64_e32 v[34:35], s[8:9], v[40:41]
	v_fmac_f64_e32 v[38:39], s[8:9], v[40:41]
	v_fma_f64 v[40:41], -0.5, v[14:15], v[4:5]
	v_add_f64 v[110:111], v[70:71], v[80:81]
	v_fma_f64 v[14:15], s[10:11], v[108:109], v[40:41]
	v_fmac_f64_e32 v[40:41], s[2:3], v[108:109]
	v_fma_f64 v[36:37], -0.5, v[110:111], v[4:5]
	v_fmac_f64_e32 v[14:15], s[12:13], v[48:49]
	v_fmac_f64_e32 v[40:41], s[6:7], v[48:49]
	v_add_f64 v[4:5], v[4:5], v[70:71]
	v_fmac_f64_e32 v[14:15], s[8:9], v[56:57]
	v_fmac_f64_e32 v[40:41], s[8:9], v[56:57]
	v_add_f64 v[4:5], v[104:105], v[4:5]
	v_lshl_add_u64 v[56:57], v[132:133], 4, s[4:5]
	v_add_f64 v[82:83], v[104:105], -v[70:71]
	v_add_f64 v[102:103], v[106:107], -v[80:81]
	v_add_f64 v[4:5], v[4:5], v[106:107]
	v_lshl_add_u64 v[60:61], v[56:57], 0, s[0:1]
	v_add_co_u32_e32 v56, vcc, s15, v56
	v_add_f64 v[74:75], v[82:83], v[102:103]
	v_fma_f64 v[32:33], s[2:3], v[48:49], v[36:37]
	v_fmac_f64_e32 v[36:37], s[10:11], v[48:49]
	v_add_f64 v[48:49], v[4:5], v[80:81]
	ds_read2_b64 v[80:83], v146 offset0:92 offset1:217
	global_load_dwordx4 v[104:107], v[60:61], off offset:32
	global_load_dwordx4 v[120:123], v[60:61], off offset:16
	v_addc_co_u32_e32 v57, vcc, 0, v57, vcc
	v_fmac_f64_e32 v[32:33], s[12:13], v[108:109]
	v_fmac_f64_e32 v[36:37], s[6:7], v[108:109]
	global_load_dwordx4 v[108:111], v[56:57], off offset:1728
	global_load_dwordx4 v[112:115], v[60:61], off offset:48
	ds_read2_b64 v[116:119], v144 offset0:62 offset1:187
	s_waitcnt vmcnt(6)
	v_mul_f64 v[4:5], v[54:55], v[98:99]
	s_waitcnt lgkmcnt(1)
	v_fma_f64 v[4:5], v[96:97], v[82:83], -v[4:5]
	v_mul_f64 v[82:83], v[82:83], v[98:99]
	v_fmac_f64_e32 v[82:83], v[54:55], v[96:97]
	ds_read_b64 v[54:55], v9
	s_waitcnt vmcnt(5)
	v_mul_f64 v[56:57], v[64:65], v[94:95]
	v_mul_f64 v[60:61], v[68:69], v[86:87]
	s_waitcnt vmcnt(4)
	v_mul_f64 v[66:67], v[46:47], v[90:91]
	v_fma_f64 v[102:103], v[92:93], v[72:73], -v[56:57]
	v_fma_f64 v[60:61], v[84:85], v[76:77], -v[60:61]
	s_waitcnt lgkmcnt(1)
	v_fma_f64 v[124:125], v[88:89], v[118:119], -v[66:67]
	v_add_f64 v[56:57], v[4:5], -v[102:103]
	v_add_f64 v[66:67], v[60:61], -v[124:125]
	v_mul_f64 v[76:77], v[76:77], v[86:87]
	v_add_f64 v[70:71], v[56:57], v[66:67]
	v_fmac_f64_e32 v[76:77], v[68:69], v[84:85]
	v_add_f64 v[56:57], v[102:103], v[124:125]
	v_mul_f64 v[84:85], v[72:73], v[94:95]
	v_mul_f64 v[86:87], v[118:119], v[90:91]
	v_add_f64 v[68:69], v[82:83], -v[76:77]
	s_waitcnt lgkmcnt(0)
	v_fma_f64 v[66:67], -0.5, v[56:57], v[54:55]
	v_fmac_f64_e32 v[84:85], v[64:65], v[92:93]
	v_fmac_f64_e32 v[86:87], v[46:47], v[88:89]
	v_fma_f64 v[56:57], s[10:11], v[68:69], v[66:67]
	v_add_f64 v[46:47], v[84:85], -v[86:87]
	v_fmac_f64_e32 v[66:67], s[2:3], v[68:69]
	v_fmac_f64_e32 v[56:57], s[6:7], v[46:47]
	;; [unrolled: 1-line block ×5, first 2 shown]
	v_add_f64 v[64:65], v[102:103], -v[4:5]
	v_add_f64 v[70:71], v[124:125], -v[60:61]
	v_add_f64 v[64:65], v[64:65], v[70:71]
	v_add_f64 v[70:71], v[4:5], v[60:61]
	v_fmac_f64_e32 v[32:33], s[8:9], v[74:75]
	v_fmac_f64_e32 v[36:37], s[8:9], v[74:75]
	v_fma_f64 v[74:75], -0.5, v[70:71], v[54:55]
	v_fma_f64 v[70:71], s[2:3], v[46:47], v[74:75]
	v_fmac_f64_e32 v[74:75], s[10:11], v[46:47]
	v_add_f64 v[46:47], v[102:103], v[54:55]
	v_add_f64 v[46:47], v[4:5], v[46:47]
	;; [unrolled: 1-line block ×4, first 2 shown]
	v_add_f64 v[46:47], v[82:83], -v[84:85]
	v_add_f64 v[54:55], v[76:77], -v[86:87]
	v_fmac_f64_e32 v[70:71], s[6:7], v[68:69]
	v_fmac_f64_e32 v[74:75], s[12:13], v[68:69]
	v_add_f64 v[46:47], v[46:47], v[54:55]
	v_add_f64 v[54:55], v[84:85], v[86:87]
	v_fmac_f64_e32 v[70:71], s[8:9], v[64:65]
	v_fmac_f64_e32 v[74:75], s[8:9], v[64:65]
	v_fma_f64 v[64:65], -0.5, v[54:55], v[100:101]
	v_add_f64 v[4:5], v[4:5], -v[60:61]
	v_add_f64 v[88:89], v[102:103], -v[124:125]
	v_fma_f64 v[54:55], s[2:3], v[4:5], v[64:65]
	v_fmac_f64_e32 v[64:65], s[10:11], v[4:5]
	v_fmac_f64_e32 v[54:55], s[12:13], v[88:89]
	;; [unrolled: 1-line block ×5, first 2 shown]
	v_add_f64 v[46:47], v[84:85], -v[82:83]
	v_add_f64 v[60:61], v[86:87], -v[76:77]
	v_add_f64 v[46:47], v[46:47], v[60:61]
	v_add_f64 v[60:61], v[82:83], v[76:77]
	v_fma_f64 v[72:73], -0.5, v[60:61], v[100:101]
	v_fma_f64 v[68:69], s[10:11], v[88:89], v[72:73]
	v_fmac_f64_e32 v[72:73], s[2:3], v[88:89]
	v_fmac_f64_e32 v[68:69], s[12:13], v[4:5]
	;; [unrolled: 1-line block ×3, first 2 shown]
	v_add_f64 v[4:5], v[100:101], v[84:85]
	v_add_f64 v[4:5], v[82:83], v[4:5]
	;; [unrolled: 1-line block ×3, first 2 shown]
	v_lshlrev_b32_e32 v132, 2, v147
	v_add_f64 v[76:77], v[4:5], v[86:87]
	ds_read2_b64 v[100:103], v142 offset0:80 offset1:205
	v_lshl_add_u64 v[86:87], v[132:133], 4, s[4:5]
	ds_read2_b64 v[96:99], v143 offset0:110 offset1:235
	v_lshl_add_u64 v[88:89], v[86:87], 0, s[0:1]
	global_load_dwordx4 v[124:127], v[88:89], off offset:32
	global_load_dwordx4 v[142:145], v[88:89], off offset:16
	v_add_co_u32_e32 v86, vcc, s15, v86
	s_waitcnt vmcnt(4)
	v_mul_f64 v[4:5], v[52:53], v[122:123]
	v_mul_f64 v[82:83], v[30:31], v[106:107]
	v_addc_co_u32_e32 v87, vcc, 0, v87, vcc
	v_mul_f64 v[122:123], v[80:81], v[122:123]
	ds_read_b64 v[8:9], v8
	v_fmac_f64_e32 v[68:69], s[8:9], v[46:47]
	v_fmac_f64_e32 v[72:73], s[8:9], v[46:47]
	v_fma_f64 v[4:5], v[120:121], v[80:81], -v[4:5]
	s_waitcnt vmcnt(3)
	v_mul_f64 v[46:47], v[26:27], v[110:111]
	s_waitcnt lgkmcnt(2)
	v_fma_f64 v[84:85], v[104:105], v[102:103], -v[82:83]
	s_waitcnt vmcnt(2)
	v_mul_f64 v[82:83], v[44:45], v[114:115]
	global_load_dwordx4 v[146:149], v[86:87], off offset:1728
	v_fmac_f64_e32 v[122:123], v[52:53], v[120:121]
	global_load_dwordx4 v[118:121], v[88:89], off offset:48
	s_waitcnt lgkmcnt(1)
	v_fma_f64 v[60:61], v[108:109], v[98:99], -v[46:47]
	v_fma_f64 v[92:93], v[112:113], v[116:117], -v[82:83]
	v_add_f64 v[46:47], v[4:5], -v[60:61]
	v_add_f64 v[82:83], v[84:85], -v[92:93]
	v_mul_f64 v[52:53], v[102:103], v[106:107]
	v_mul_f64 v[98:99], v[98:99], v[110:111]
	v_add_f64 v[86:87], v[46:47], v[82:83]
	v_fmac_f64_e32 v[52:53], v[30:31], v[104:105]
	v_add_f64 v[46:47], v[60:61], v[92:93]
	v_fmac_f64_e32 v[98:99], v[26:27], v[108:109]
	v_mul_f64 v[26:27], v[116:117], v[114:115]
	v_add_f64 v[30:31], v[122:123], -v[52:53]
	s_waitcnt lgkmcnt(0)
	v_fma_f64 v[82:83], -0.5, v[46:47], v[8:9]
	v_fmac_f64_e32 v[26:27], v[44:45], v[112:113]
	v_fma_f64 v[46:47], s[10:11], v[30:31], v[82:83]
	v_add_f64 v[44:45], v[98:99], -v[26:27]
	v_fmac_f64_e32 v[82:83], s[2:3], v[30:31]
	v_fmac_f64_e32 v[46:47], s[6:7], v[44:45]
	;; [unrolled: 1-line block ×5, first 2 shown]
	v_add_f64 v[80:81], v[60:61], -v[4:5]
	v_add_f64 v[86:87], v[92:93], -v[84:85]
	v_add_f64 v[80:81], v[80:81], v[86:87]
	v_add_f64 v[86:87], v[4:5], v[84:85]
	v_fma_f64 v[90:91], -0.5, v[86:87], v[8:9]
	v_add_f64 v[8:9], v[60:61], v[8:9]
	v_fma_f64 v[86:87], s[2:3], v[44:45], v[90:91]
	v_fmac_f64_e32 v[90:91], s[10:11], v[44:45]
	v_add_f64 v[8:9], v[4:5], v[8:9]
	v_fmac_f64_e32 v[86:87], s[6:7], v[30:31]
	v_fmac_f64_e32 v[90:91], s[12:13], v[30:31]
	v_add_f64 v[8:9], v[84:85], v[8:9]
	v_add_f64 v[44:45], v[98:99], v[26:27]
	v_fmac_f64_e32 v[86:87], s[8:9], v[80:81]
	v_fmac_f64_e32 v[90:91], s[8:9], v[80:81]
	v_add_f64 v[94:95], v[92:93], v[8:9]
	v_add_f64 v[8:9], v[122:123], -v[98:99]
	v_add_f64 v[30:31], v[52:53], -v[26:27]
	v_fma_f64 v[80:81], -0.5, v[44:45], v[136:137]
	v_add_f64 v[4:5], v[4:5], -v[84:85]
	v_add_f64 v[8:9], v[8:9], v[30:31]
	v_add_f64 v[30:31], v[60:61], -v[92:93]
	v_fma_f64 v[44:45], s[2:3], v[4:5], v[80:81]
	v_fmac_f64_e32 v[80:81], s[10:11], v[4:5]
	v_fmac_f64_e32 v[44:45], s[12:13], v[30:31]
	;; [unrolled: 1-line block ×5, first 2 shown]
	v_add_f64 v[8:9], v[98:99], -v[122:123]
	v_add_f64 v[60:61], v[26:27], -v[52:53]
	v_add_f64 v[8:9], v[8:9], v[60:61]
	v_add_f64 v[60:61], v[122:123], v[52:53]
	v_fma_f64 v[88:89], -0.5, v[60:61], v[136:137]
	v_fma_f64 v[84:85], s[10:11], v[30:31], v[88:89]
	v_fmac_f64_e32 v[88:89], s[2:3], v[30:31]
	v_fmac_f64_e32 v[84:85], s[12:13], v[4:5]
	;; [unrolled: 1-line block ×5, first 2 shown]
	v_lshl_add_u64 v[8:9], v[134:135], 0, s[0:1]
	v_add_co_u32_e32 v30, vcc, s15, v134
	ds_read2_b64 v[102:105], v140 offset0:98 offset1:223
	global_load_dwordx4 v[106:109], v[8:9], off offset:32
	global_load_dwordx4 v[110:113], v[8:9], off offset:16
	v_addc_co_u32_e32 v31, vcc, 0, v135, vcc
	v_add_f64 v[4:5], v[136:137], v[98:99]
	global_load_dwordx4 v[114:117], v[30:31], off offset:1728
	global_load_dwordx4 v[134:137], v[8:9], off offset:48
	v_add_f64 v[4:5], v[122:123], v[4:5]
	v_add_f64 v[4:5], v[4:5], v[52:53]
	ds_read2_b64 v[150:153], v138 offset0:68 offset1:193
	v_add_f64 v[92:93], v[4:5], v[26:27]
	s_waitcnt vmcnt(6)
	v_mul_f64 v[4:5], v[22:23], v[144:145]
	s_waitcnt lgkmcnt(1)
	v_fma_f64 v[52:53], v[142:143], v[104:105], -v[4:5]
	v_mul_f64 v[104:105], v[104:105], v[144:145]
	v_mul_f64 v[26:27], v[28:29], v[126:127]
	v_fmac_f64_e32 v[104:105], v[22:23], v[142:143]
	ds_read2_b64 v[142:145], v131 offset1:125
	s_waitcnt vmcnt(5)
	v_mul_f64 v[4:5], v[24:25], v[148:149]
	v_fma_f64 v[60:61], v[124:125], v[100:101], -v[26:27]
	s_waitcnt vmcnt(4)
	v_mul_f64 v[26:27], v[12:13], v[120:121]
	v_fma_f64 v[8:9], v[146:147], v[96:97], -v[4:5]
	s_waitcnt lgkmcnt(1)
	v_fma_f64 v[122:123], v[118:119], v[152:153], -v[26:27]
	v_add_f64 v[4:5], v[52:53], -v[8:9]
	v_add_f64 v[26:27], v[60:61], -v[122:123]
	v_mul_f64 v[22:23], v[100:101], v[126:127]
	v_add_f64 v[4:5], v[4:5], v[26:27]
	v_fmac_f64_e32 v[22:23], v[28:29], v[124:125]
	v_add_f64 v[26:27], v[8:9], v[122:123]
	v_mul_f64 v[100:101], v[96:97], v[148:149]
	v_mul_f64 v[124:125], v[152:153], v[120:121]
	v_add_f64 v[28:29], v[104:105], -v[22:23]
	s_waitcnt lgkmcnt(0)
	v_fma_f64 v[30:31], -0.5, v[26:27], v[144:145]
	v_fmac_f64_e32 v[100:101], v[24:25], v[146:147]
	v_fmac_f64_e32 v[124:125], v[12:13], v[118:119]
	v_fma_f64 v[26:27], s[10:11], v[28:29], v[30:31]
	v_add_f64 v[12:13], v[100:101], -v[124:125]
	v_fmac_f64_e32 v[30:31], s[2:3], v[28:29]
	v_fmac_f64_e32 v[26:27], s[6:7], v[12:13]
	;; [unrolled: 1-line block ×5, first 2 shown]
	v_add_f64 v[4:5], v[8:9], -v[52:53]
	v_add_f64 v[24:25], v[122:123], -v[60:61]
	v_add_f64 v[4:5], v[4:5], v[24:25]
	v_add_f64 v[24:25], v[52:53], v[60:61]
	v_fma_f64 v[98:99], -0.5, v[24:25], v[144:145]
	v_fma_f64 v[120:121], s[2:3], v[12:13], v[98:99]
	v_fmac_f64_e32 v[98:99], s[10:11], v[12:13]
	v_fmac_f64_e32 v[120:121], s[6:7], v[28:29]
	;; [unrolled: 1-line block ×3, first 2 shown]
	v_add_f64 v[12:13], v[104:105], -v[100:101]
	v_add_f64 v[24:25], v[22:23], -v[124:125]
	v_fmac_f64_e32 v[120:121], s[8:9], v[4:5]
	v_fmac_f64_e32 v[98:99], s[8:9], v[4:5]
	v_add_f64 v[4:5], v[8:9], v[144:145]
	v_add_f64 v[12:13], v[12:13], v[24:25]
	;; [unrolled: 1-line block ×4, first 2 shown]
	v_fma_f64 v[28:29], -0.5, v[24:25], v[2:3]
	v_add_f64 v[52:53], v[52:53], -v[60:61]
	v_add_f64 v[8:9], v[8:9], -v[122:123]
	v_fma_f64 v[24:25], s[2:3], v[52:53], v[28:29]
	v_fmac_f64_e32 v[28:29], s[10:11], v[52:53]
	v_fmac_f64_e32 v[24:25], s[12:13], v[8:9]
	;; [unrolled: 1-line block ×3, first 2 shown]
	v_add_f64 v[4:5], v[60:61], v[4:5]
	v_fmac_f64_e32 v[24:25], s[8:9], v[12:13]
	v_fmac_f64_e32 v[28:29], s[8:9], v[12:13]
	v_add_f64 v[12:13], v[100:101], -v[104:105]
	v_add_f64 v[60:61], v[124:125], -v[22:23]
	v_add_f64 v[12:13], v[12:13], v[60:61]
	v_add_f64 v[60:61], v[104:105], v[22:23]
	v_fma_f64 v[96:97], -0.5, v[60:61], v[2:3]
	v_fma_f64 v[118:119], s[10:11], v[8:9], v[96:97]
	v_fmac_f64_e32 v[96:97], s[2:3], v[8:9]
	v_fmac_f64_e32 v[118:119], s[12:13], v[52:53]
	;; [unrolled: 1-line block ×3, first 2 shown]
	v_add_f64 v[2:3], v[2:3], v[100:101]
	v_fmac_f64_e32 v[118:119], s[8:9], v[12:13]
	v_fmac_f64_e32 v[96:97], s[8:9], v[12:13]
	v_add_f64 v[2:3], v[104:105], v[2:3]
	s_waitcnt vmcnt(2)
	v_mul_f64 v[8:9], v[20:21], v[112:113]
	v_mul_f64 v[12:13], v[18:19], v[108:109]
	v_add_f64 v[2:3], v[2:3], v[22:23]
	v_fma_f64 v[22:23], v[110:111], v[102:103], -v[8:9]
	s_waitcnt vmcnt(1)
	v_mul_f64 v[8:9], v[6:7], v[116:117]
	v_fma_f64 v[100:101], v[106:107], v[58:59], -v[12:13]
	s_waitcnt vmcnt(0)
	v_mul_f64 v[12:13], v[10:11], v[136:137]
	v_fma_f64 v[52:53], v[114:115], v[62:63], -v[8:9]
	v_fma_f64 v[104:105], v[134:135], v[150:151], -v[12:13]
	v_add_f64 v[8:9], v[22:23], -v[52:53]
	v_add_f64 v[12:13], v[100:101], -v[104:105]
	v_mul_f64 v[112:113], v[102:103], v[112:113]
	v_mul_f64 v[108:109], v[58:59], v[108:109]
	v_add_f64 v[60:61], v[8:9], v[12:13]
	v_fmac_f64_e32 v[112:113], v[20:21], v[110:111]
	v_fmac_f64_e32 v[108:109], v[18:19], v[106:107]
	v_add_f64 v[8:9], v[52:53], v[104:105]
	v_mul_f64 v[62:63], v[62:63], v[116:117]
	v_mul_f64 v[106:107], v[150:151], v[136:137]
	v_add_f64 v[18:19], v[112:113], -v[108:109]
	v_fma_f64 v[8:9], -0.5, v[8:9], v[142:143]
	v_fmac_f64_e32 v[62:63], v[6:7], v[114:115]
	v_fmac_f64_e32 v[106:107], v[10:11], v[134:135]
	v_add_f64 v[10:11], v[52:53], -v[22:23]
	v_add_f64 v[20:21], v[104:105], -v[100:101]
	v_fma_f64 v[12:13], s[10:11], v[18:19], v[8:9]
	v_add_f64 v[6:7], v[62:63], -v[106:107]
	v_fmac_f64_e32 v[8:9], s[2:3], v[18:19]
	v_add_f64 v[10:11], v[10:11], v[20:21]
	v_add_f64 v[20:21], v[22:23], v[100:101]
	v_fmac_f64_e32 v[12:13], s[6:7], v[6:7]
	v_fmac_f64_e32 v[8:9], s[12:13], v[6:7]
	v_fma_f64 v[20:21], -0.5, v[20:21], v[142:143]
	v_fmac_f64_e32 v[12:13], s[8:9], v[60:61]
	v_fmac_f64_e32 v[8:9], s[8:9], v[60:61]
	v_fma_f64 v[60:61], s[2:3], v[6:7], v[20:21]
	v_fmac_f64_e32 v[20:21], s[10:11], v[6:7]
	v_add_f64 v[6:7], v[52:53], v[142:143]
	v_add_f64 v[6:7], v[22:23], v[6:7]
	v_fmac_f64_e32 v[60:61], s[6:7], v[18:19]
	v_fmac_f64_e32 v[20:21], s[12:13], v[18:19]
	v_add_f64 v[6:7], v[100:101], v[6:7]
	v_fmac_f64_e32 v[60:61], s[8:9], v[10:11]
	v_fmac_f64_e32 v[20:21], s[8:9], v[10:11]
	v_add_f64 v[102:103], v[104:105], v[6:7]
	v_add_f64 v[6:7], v[112:113], -v[62:63]
	v_add_f64 v[10:11], v[108:109], -v[106:107]
	v_add_f64 v[18:19], v[6:7], v[10:11]
	v_add_f64 v[6:7], v[62:63], v[106:107]
	v_fma_f64 v[6:7], -0.5, v[6:7], v[0:1]
	v_add_f64 v[22:23], v[22:23], -v[100:101]
	v_add_f64 v[52:53], v[52:53], -v[104:105]
	v_fma_f64 v[10:11], s[2:3], v[22:23], v[6:7]
	v_fmac_f64_e32 v[6:7], s[10:11], v[22:23]
	v_fmac_f64_e32 v[10:11], s[12:13], v[52:53]
	;; [unrolled: 1-line block ×5, first 2 shown]
	v_add_f64 v[18:19], v[62:63], -v[112:113]
	v_add_f64 v[58:59], v[106:107], -v[108:109]
	v_add_f64 v[100:101], v[18:19], v[58:59]
	v_add_f64 v[18:19], v[112:113], v[108:109]
	v_fma_f64 v[18:19], -0.5, v[18:19], v[0:1]
	v_add_f64 v[0:1], v[0:1], v[62:63]
	v_fma_f64 v[58:59], s[10:11], v[52:53], v[18:19]
	v_fmac_f64_e32 v[18:19], s[2:3], v[52:53]
	v_add_f64 v[0:1], v[112:113], v[0:1]
	v_fmac_f64_e32 v[58:59], s[12:13], v[22:23]
	v_fmac_f64_e32 v[18:19], s[6:7], v[22:23]
	v_add_f64 v[0:1], v[0:1], v[108:109]
	v_mov_b32_e32 v131, v133
	v_fmac_f64_e32 v[58:59], s[8:9], v[100:101]
	v_fmac_f64_e32 v[18:19], s[8:9], v[100:101]
	v_add_f64 v[100:101], v[0:1], v[106:107]
	v_lshl_add_u64 v[0:1], v[130:131], 4, v[128:129]
	v_add_co_u32_e32 v22, vcc, s15, v0
	s_movk_i32 s0, 0x7000
	s_nop 0
	v_addc_co_u32_e32 v23, vcc, 0, v1, vcc
	global_store_dwordx4 v[22:23], v[18:21], off offset:1808
	v_add_f64 v[2:3], v[2:3], v[124:125]
	v_add_f64 v[4:5], v[122:123], v[4:5]
	v_add_co_u32_e32 v18, vcc, s14, v0
	global_store_dwordx4 v[0:1], v[100:103], off
	s_nop 0
	v_addc_co_u32_e32 v19, vcc, 0, v1, vcc
	global_store_dwordx4 v[18:19], v[6:9], off offset:3616
	s_nop 1
	v_add_co_u32_e32 v6, vcc, s0, v0
	s_mov_b32 s0, 0x9000
	s_nop 0
	v_addc_co_u32_e32 v7, vcc, 0, v1, vcc
	v_add_co_u32_e32 v8, vcc, s0, v0
	s_movk_i32 s0, 0x5000
	s_nop 0
	v_addc_co_u32_e32 v9, vcc, 0, v1, vcc
	global_store_dwordx4 v[6:7], v[10:13], off offset:1328
	global_store_dwordx4 v[8:9], v[58:61], off offset:3136
	;; [unrolled: 1-line block ×4, first 2 shown]
	s_nop 0
	v_add_co_u32_e32 v2, vcc, s0, v0
	s_mov_b32 s0, 0xa000
	s_nop 0
	v_addc_co_u32_e32 v3, vcc, 0, v1, vcc
	v_add_co_u32_e32 v4, vcc, s0, v0
	s_movk_i32 s0, 0x3000
	s_nop 0
	v_addc_co_u32_e32 v5, vcc, 0, v1, vcc
	global_store_dwordx4 v[2:3], v[28:31], off offset:1520
	global_store_dwordx4 v[6:7], v[24:27], off offset:3328
	v_add_co_u32_e32 v6, vcc, s0, v0
	s_mov_b32 s0, 0x8000
	s_nop 0
	v_addc_co_u32_e32 v7, vcc, 0, v1, vcc
	global_store_dwordx4 v[4:5], v[118:121], off offset:1040
	global_store_dwordx4 v[0:1], v[92:95], off offset:4000
	;; [unrolled: 1-line block ×4, first 2 shown]
	v_add_co_u32_e32 v2, vcc, s0, v0
	s_movk_i32 s0, 0x1000
	s_nop 0
	v_addc_co_u32_e32 v3, vcc, 0, v1, vcc
	global_store_dwordx4 v[2:3], v[44:47], off offset:1232
	global_store_dwordx4 v[4:5], v[84:87], off offset:3040
	v_add_co_u32_e32 v4, vcc, s0, v0
	s_movk_i32 s0, 0x6000
	s_nop 0
	v_addc_co_u32_e32 v5, vcc, 0, v1, vcc
	global_store_dwordx4 v[4:5], v[76:79], off offset:1904
	global_store_dwordx4 v[6:7], v[72:75], off offset:3712
	v_add_co_u32_e32 v4, vcc, s0, v0
	s_mov_b32 s0, 0xb000
	s_nop 0
	v_addc_co_u32_e32 v5, vcc, 0, v1, vcc
	v_add_co_u32_e32 v0, vcc, s0, v0
	s_mov_b32 s0, 0xd1b71759
	s_nop 0
	v_addc_co_u32_e32 v1, vcc, 0, v1, vcc
	global_store_dwordx4 v[4:5], v[64:67], off offset:1424
	global_store_dwordx4 v[2:3], v[54:57], off offset:3232
	;; [unrolled: 1-line block ×3, first 2 shown]
	v_mul_hi_u32 v0, v141, s0
	v_lshrrev_b32_e32 v0, 9, v0
	s_movk_i32 s0, 0x9c4
	v_mad_u32_u24 v132, v0, s0, v141
	v_lshl_add_u64 v[0:1], v[132:133], 4, v[128:129]
	v_add_co_u32_e32 v2, vcc, s15, v0
	global_store_dwordx4 v[0:1], v[48:51], off
	s_nop 0
	v_addc_co_u32_e32 v3, vcc, 0, v1, vcc
	global_store_dwordx4 v[2:3], v[40:43], off offset:1808
	v_add_co_u32_e32 v2, vcc, s14, v0
	s_nop 1
	v_addc_co_u32_e32 v3, vcc, 0, v1, vcc
	global_store_dwordx4 v[2:3], v[36:39], off offset:3616
	v_add_co_u32_e32 v2, vcc, 0x7000, v0
	s_nop 1
	v_addc_co_u32_e32 v3, vcc, 0, v1, vcc
	v_add_co_u32_e32 v0, vcc, 0x9000, v0
	global_store_dwordx4 v[2:3], v[32:35], off offset:1328
	s_nop 0
	v_addc_co_u32_e32 v1, vcc, 0, v1, vcc
	global_store_dwordx4 v[0:1], v[14:17], off offset:3136
.LBB0_13:
	s_endpgm
	.section	.rodata,"a",@progbits
	.p2align	6, 0x0
	.amdhsa_kernel fft_rtc_back_len3125_factors_5_5_5_5_5_wgs_125_tpt_125_halfLds_dp_ip_CI_unitstride_sbrr_dirReg
		.amdhsa_group_segment_fixed_size 0
		.amdhsa_private_segment_fixed_size 0
		.amdhsa_kernarg_size 88
		.amdhsa_user_sgpr_count 2
		.amdhsa_user_sgpr_dispatch_ptr 0
		.amdhsa_user_sgpr_queue_ptr 0
		.amdhsa_user_sgpr_kernarg_segment_ptr 1
		.amdhsa_user_sgpr_dispatch_id 0
		.amdhsa_user_sgpr_kernarg_preload_length 0
		.amdhsa_user_sgpr_kernarg_preload_offset 0
		.amdhsa_user_sgpr_private_segment_size 0
		.amdhsa_uses_dynamic_stack 0
		.amdhsa_enable_private_segment 0
		.amdhsa_system_sgpr_workgroup_id_x 1
		.amdhsa_system_sgpr_workgroup_id_y 0
		.amdhsa_system_sgpr_workgroup_id_z 0
		.amdhsa_system_sgpr_workgroup_info 0
		.amdhsa_system_vgpr_workitem_id 0
		.amdhsa_next_free_vgpr 186
		.amdhsa_next_free_sgpr 22
		.amdhsa_accum_offset 188
		.amdhsa_reserve_vcc 1
		.amdhsa_float_round_mode_32 0
		.amdhsa_float_round_mode_16_64 0
		.amdhsa_float_denorm_mode_32 3
		.amdhsa_float_denorm_mode_16_64 3
		.amdhsa_dx10_clamp 1
		.amdhsa_ieee_mode 1
		.amdhsa_fp16_overflow 0
		.amdhsa_tg_split 0
		.amdhsa_exception_fp_ieee_invalid_op 0
		.amdhsa_exception_fp_denorm_src 0
		.amdhsa_exception_fp_ieee_div_zero 0
		.amdhsa_exception_fp_ieee_overflow 0
		.amdhsa_exception_fp_ieee_underflow 0
		.amdhsa_exception_fp_ieee_inexact 0
		.amdhsa_exception_int_div_zero 0
	.end_amdhsa_kernel
	.text
.Lfunc_end0:
	.size	fft_rtc_back_len3125_factors_5_5_5_5_5_wgs_125_tpt_125_halfLds_dp_ip_CI_unitstride_sbrr_dirReg, .Lfunc_end0-fft_rtc_back_len3125_factors_5_5_5_5_5_wgs_125_tpt_125_halfLds_dp_ip_CI_unitstride_sbrr_dirReg
                                        ; -- End function
	.section	.AMDGPU.csdata,"",@progbits
; Kernel info:
; codeLenInByte = 17648
; NumSgprs: 28
; NumVgprs: 186
; NumAgprs: 0
; TotalNumVgprs: 186
; ScratchSize: 0
; MemoryBound: 1
; FloatMode: 240
; IeeeMode: 1
; LDSByteSize: 0 bytes/workgroup (compile time only)
; SGPRBlocks: 3
; VGPRBlocks: 23
; NumSGPRsForWavesPerEU: 28
; NumVGPRsForWavesPerEU: 186
; AccumOffset: 188
; Occupancy: 2
; WaveLimiterHint : 1
; COMPUTE_PGM_RSRC2:SCRATCH_EN: 0
; COMPUTE_PGM_RSRC2:USER_SGPR: 2
; COMPUTE_PGM_RSRC2:TRAP_HANDLER: 0
; COMPUTE_PGM_RSRC2:TGID_X_EN: 1
; COMPUTE_PGM_RSRC2:TGID_Y_EN: 0
; COMPUTE_PGM_RSRC2:TGID_Z_EN: 0
; COMPUTE_PGM_RSRC2:TIDIG_COMP_CNT: 0
; COMPUTE_PGM_RSRC3_GFX90A:ACCUM_OFFSET: 46
; COMPUTE_PGM_RSRC3_GFX90A:TG_SPLIT: 0
	.text
	.p2alignl 6, 3212836864
	.fill 256, 4, 3212836864
	.type	__hip_cuid_a08eca752e6b8d12,@object ; @__hip_cuid_a08eca752e6b8d12
	.section	.bss,"aw",@nobits
	.globl	__hip_cuid_a08eca752e6b8d12
__hip_cuid_a08eca752e6b8d12:
	.byte	0                               ; 0x0
	.size	__hip_cuid_a08eca752e6b8d12, 1

	.ident	"AMD clang version 19.0.0git (https://github.com/RadeonOpenCompute/llvm-project roc-6.4.0 25133 c7fe45cf4b819c5991fe208aaa96edf142730f1d)"
	.section	".note.GNU-stack","",@progbits
	.addrsig
	.addrsig_sym __hip_cuid_a08eca752e6b8d12
	.amdgpu_metadata
---
amdhsa.kernels:
  - .agpr_count:     0
    .args:
      - .actual_access:  read_only
        .address_space:  global
        .offset:         0
        .size:           8
        .value_kind:     global_buffer
      - .offset:         8
        .size:           8
        .value_kind:     by_value
      - .actual_access:  read_only
        .address_space:  global
        .offset:         16
        .size:           8
        .value_kind:     global_buffer
      - .actual_access:  read_only
        .address_space:  global
        .offset:         24
        .size:           8
        .value_kind:     global_buffer
      - .offset:         32
        .size:           8
        .value_kind:     by_value
      - .actual_access:  read_only
        .address_space:  global
        .offset:         40
        .size:           8
        .value_kind:     global_buffer
      - .actual_access:  read_only
        .address_space:  global
        .offset:         48
        .size:           8
        .value_kind:     global_buffer
      - .offset:         56
        .size:           4
        .value_kind:     by_value
      - .actual_access:  read_only
        .address_space:  global
        .offset:         64
        .size:           8
        .value_kind:     global_buffer
      - .actual_access:  read_only
        .address_space:  global
        .offset:         72
        .size:           8
        .value_kind:     global_buffer
      - .address_space:  global
        .offset:         80
        .size:           8
        .value_kind:     global_buffer
    .group_segment_fixed_size: 0
    .kernarg_segment_align: 8
    .kernarg_segment_size: 88
    .language:       OpenCL C
    .language_version:
      - 2
      - 0
    .max_flat_workgroup_size: 125
    .name:           fft_rtc_back_len3125_factors_5_5_5_5_5_wgs_125_tpt_125_halfLds_dp_ip_CI_unitstride_sbrr_dirReg
    .private_segment_fixed_size: 0
    .sgpr_count:     28
    .sgpr_spill_count: 0
    .symbol:         fft_rtc_back_len3125_factors_5_5_5_5_5_wgs_125_tpt_125_halfLds_dp_ip_CI_unitstride_sbrr_dirReg.kd
    .uniform_work_group_size: 1
    .uses_dynamic_stack: false
    .vgpr_count:     186
    .vgpr_spill_count: 0
    .wavefront_size: 64
amdhsa.target:   amdgcn-amd-amdhsa--gfx950
amdhsa.version:
  - 1
  - 2
...

	.end_amdgpu_metadata
